;; amdgpu-corpus repo=ROCm/rocFFT kind=compiled arch=gfx950 opt=O3
	.text
	.amdgcn_target "amdgcn-amd-amdhsa--gfx950"
	.amdhsa_code_object_version 6
	.protected	bluestein_single_back_len816_dim1_dp_op_CI_CI ; -- Begin function bluestein_single_back_len816_dim1_dp_op_CI_CI
	.globl	bluestein_single_back_len816_dim1_dp_op_CI_CI
	.p2align	8
	.type	bluestein_single_back_len816_dim1_dp_op_CI_CI,@function
bluestein_single_back_len816_dim1_dp_op_CI_CI: ; @bluestein_single_back_len816_dim1_dp_op_CI_CI
; %bb.0:
	s_load_dwordx4 s[8:11], s[0:1], 0x28
	v_mul_u32_u24_e32 v1, 0x506, v0
	v_mov_b32_e32 v229, 0
	v_add_u32_sdwa v230, s2, v1 dst_sel:DWORD dst_unused:UNUSED_PAD src0_sel:DWORD src1_sel:WORD_1
	v_mov_b32_e32 v231, v229
	s_waitcnt lgkmcnt(0)
	v_cmp_gt_u64_e32 vcc, s[8:9], v[230:231]
	s_and_saveexec_b64 s[2:3], vcc
	s_cbranch_execz .LBB0_23
; %bb.1:
	s_load_dwordx2 s[8:9], s[0:1], 0x0
	s_load_dwordx2 s[12:13], s[0:1], 0x38
	v_mov_b32_e32 v2, 51
	v_mul_lo_u16_sdwa v1, v1, v2 dst_sel:DWORD dst_unused:UNUSED_PAD src0_sel:WORD_1 src1_sel:DWORD
	v_sub_u16_e32 v228, v0, v1
	v_cmp_gt_u16_e32 vcc, 48, v228
	v_lshlrev_b32_e32 v242, 4, v228
	s_and_saveexec_b64 s[14:15], vcc
	s_cbranch_execz .LBB0_3
; %bb.2:
	s_load_dwordx2 s[2:3], s[0:1], 0x18
	v_mov_b32_e32 v243, 0
	s_waitcnt lgkmcnt(0)
	v_lshl_add_u64 v[102:103], s[8:9], 0, v[242:243]
	v_mov_b32_e32 v0, s10
	v_mov_b32_e32 v1, s11
	s_load_dwordx4 s[4:7], s[2:3], 0x0
	v_or_b32_e32 v65, 0x180, v228
	v_or_b32_e32 v139, 0x300, v228
	;; [unrolled: 1-line block ×3, first 2 shown]
	v_lshlrev_b32_e32 v60, 4, v65
	s_waitcnt lgkmcnt(0)
	v_mad_u64_u32 v[2:3], s[2:3], s6, v230, 0
	v_mad_u64_u32 v[4:5], s[2:3], s4, v228, 0
	v_mov_b32_e32 v6, v3
	v_mov_b32_e32 v8, v5
	v_mad_u64_u32 v[6:7], s[2:3], s7, v230, v[6:7]
	v_mov_b32_e32 v3, v6
	v_mad_u64_u32 v[6:7], s[2:3], s5, v228, v[8:9]
	s_movk_i32 s2, 0x1000
	s_nop 0
	v_add_co_u32_e64 v58, s[2:3], s2, v102
	v_mov_b32_e32 v5, v6
	v_lshl_add_u64 v[28:29], v[2:3], 4, v[0:1]
	v_lshlrev_b32_e32 v61, 4, v139
	v_addc_co_u32_e64 v59, s[2:3], 0, v103, s[2:3]
	v_lshl_add_u64 v[30:31], v[4:5], 4, v[28:29]
	global_load_dwordx4 v[0:3], v242, s[8:9]
	global_load_dwordx4 v[4:7], v[30:31], off
	global_load_dwordx4 v[8:11], v242, s[8:9] offset:768
	global_load_dwordx4 v[12:15], v242, s[8:9] offset:1536
	;; [unrolled: 1-line block ×5, first 2 shown]
	global_load_dwordx4 v[34:37], v60, s[8:9]
	global_load_dwordx4 v[38:41], v61, s[8:9]
	global_load_dwordx4 v[42:45], v[58:59], off offset:512
	global_load_dwordx4 v[46:49], v[58:59], off offset:1280
	;; [unrolled: 1-line block ×4, first 2 shown]
	v_mad_u64_u32 v[58:59], s[2:3], s4, v33, 0
	v_mad_u64_u32 v[60:61], s[2:3], s4, v65, 0
	v_mov_b32_e32 v32, 0x300
	v_mov_b32_e32 v62, v59
	;; [unrolled: 1-line block ×3, first 2 shown]
	s_mul_i32 s6, s5, 0x300
	v_mad_u64_u32 v[62:63], s[2:3], s5, v33, v[62:63]
	v_mad_u64_u32 v[64:65], s[2:3], s5, v65, v[64:65]
	;; [unrolled: 1-line block ×3, first 2 shown]
	v_mov_b32_e32 v59, v62
	v_mov_b32_e32 v61, v64
	v_add_u32_e32 v31, s6, v31
	v_lshl_add_u64 v[66:67], v[58:59], 4, v[28:29]
	v_lshl_add_u64 v[74:75], v[60:61], 4, v[28:29]
	global_load_dwordx4 v[58:61], v[30:31], off
	global_load_dwordx4 v[62:65], v[66:67], off
	v_mad_u64_u32 v[30:31], s[2:3], s4, v32, v[30:31]
	v_add_u32_e32 v31, s6, v31
	global_load_dwordx4 v[66:69], v[30:31], off
	global_load_dwordx4 v[70:73], v[74:75], off
	v_mad_u64_u32 v[30:31], s[2:3], s4, v32, v[30:31]
	v_mov_b32_e32 v116, 0x600
	v_add_u32_e32 v31, s6, v31
	s_mul_i32 s7, s5, 0x600
	global_load_dwordx4 v[74:77], v[30:31], off
	v_mad_u64_u32 v[30:31], s[2:3], s4, v116, v[30:31]
	v_add_u32_e32 v31, s7, v31
	global_load_dwordx4 v[78:81], v[30:31], off
	v_mad_u64_u32 v[30:31], s[2:3], s4, v32, v[30:31]
	v_add_u32_e32 v31, s6, v31
	;; [unrolled: 3-line block ×4, first 2 shown]
	v_mad_u64_u32 v[98:99], s[2:3], s4, v32, v[30:31]
	v_add_u32_e32 v99, s6, v99
	v_mad_u64_u32 v[114:115], s[2:3], s4, v32, v[98:99]
	s_movk_i32 s2, 0x2000
	global_load_dwordx4 v[90:93], v[30:31], off
	v_add_co_u32_e64 v134, s[2:3], s2, v102
	v_or_b32_e32 v33, 0x240, v228
	s_nop 0
	v_addc_co_u32_e64 v135, s[2:3], 0, v103, s[2:3]
	v_mad_u64_u32 v[106:107], s[2:3], s4, v33, 0
	global_load_dwordx4 v[94:97], v[98:99], off
	v_add_u32_e32 v115, s6, v115
	v_mov_b32_e32 v108, v107
	v_mad_u64_u32 v[108:109], s[2:3], s5, v33, v[108:109]
	v_mad_u64_u32 v[118:119], s[2:3], s4, v116, v[114:115]
	global_load_dwordx4 v[98:101], v[114:115], off
	global_load_dwordx4 v[102:105], v[134:135], off offset:256
	v_mov_b32_e32 v107, v108
	v_add_u32_e32 v119, s7, v119
	v_lshl_add_u64 v[106:107], v[106:107], 4, v[28:29]
	v_lshlrev_b32_e32 v33, 4, v33
	v_mad_u64_u32 v[130:131], s[2:3], s4, v32, v[118:119]
	global_load_dwordx4 v[106:109], v[106:107], off
	v_add_u32_e32 v131, s6, v131
	global_load_dwordx4 v[110:113], v33, s[8:9]
	v_mad_u64_u32 v[32:33], s[2:3], s4, v32, v[130:131]
	global_load_dwordx4 v[114:117], v[118:119], off
	v_add_u32_e32 v33, s6, v33
	global_load_dwordx4 v[118:121], v[134:135], off offset:1792
	global_load_dwordx4 v[122:125], v[130:131], off
	global_load_dwordx4 v[126:129], v[134:135], off offset:2560
	s_nop 0
	global_load_dwordx4 v[130:133], v[32:33], off
	s_nop 0
	global_load_dwordx4 v[134:137], v[134:135], off offset:3328
	v_mad_u64_u32 v[32:33], s[2:3], s4, v139, 0
	v_mov_b32_e32 v138, v33
	v_mad_u64_u32 v[138:139], s[2:3], s5, v139, v[138:139]
	v_mov_b32_e32 v33, v138
	v_lshl_add_u64 v[28:29], v[32:33], 4, v[28:29]
	global_load_dwordx4 v[138:141], v[28:29], off
	s_waitcnt vmcnt(32)
	v_mul_f64 v[30:31], v[6:7], v[2:3]
	v_mul_f64 v[2:3], v[4:5], v[2:3]
	v_fmac_f64_e32 v[30:31], v[4:5], v[0:1]
	v_fma_f64 v[32:33], v[6:7], v[0:1], -v[2:3]
	ds_write_b128 v242, v[30:33]
	s_waitcnt vmcnt(20)
	v_mul_f64 v[0:1], v[60:61], v[10:11]
	v_mul_f64 v[2:3], v[58:59], v[10:11]
	v_fmac_f64_e32 v[0:1], v[58:59], v[8:9]
	v_fma_f64 v[2:3], v[60:61], v[8:9], -v[2:3]
	ds_write_b128 v242, v[0:3] offset:768
	s_waitcnt vmcnt(18)
	v_mul_f64 v[0:1], v[68:69], v[14:15]
	v_mul_f64 v[2:3], v[66:67], v[14:15]
	v_fmac_f64_e32 v[0:1], v[66:67], v[12:13]
	v_fma_f64 v[2:3], v[68:69], v[12:13], -v[2:3]
	ds_write_b128 v242, v[0:3] offset:1536
	;; [unrolled: 6-line block ×3, first 2 shown]
	v_mul_f64 v[0:1], v[64:65], v[22:23]
	v_mul_f64 v[2:3], v[62:63], v[22:23]
	v_fmac_f64_e32 v[0:1], v[62:63], v[20:21]
	v_fma_f64 v[2:3], v[64:65], v[20:21], -v[2:3]
	ds_write_b128 v242, v[0:3] offset:3072
	s_waitcnt vmcnt(15)
	v_mul_f64 v[0:1], v[80:81], v[26:27]
	v_mul_f64 v[2:3], v[78:79], v[26:27]
	v_fmac_f64_e32 v[0:1], v[78:79], v[24:25]
	v_fma_f64 v[2:3], v[80:81], v[24:25], -v[2:3]
	ds_write_b128 v242, v[0:3] offset:3840
	s_waitcnt vmcnt(14)
	;; [unrolled: 6-line block ×3, first 2 shown]
	v_mul_f64 v[0:1], v[88:89], v[48:49]
	v_mul_f64 v[2:3], v[86:87], v[48:49]
	v_fmac_f64_e32 v[0:1], v[86:87], v[46:47]
	v_fma_f64 v[2:3], v[88:89], v[46:47], -v[2:3]
	ds_write_b128 v242, v[0:3] offset:5376
	v_mul_f64 v[0:1], v[72:73], v[36:37]
	v_mul_f64 v[2:3], v[70:71], v[36:37]
	v_fmac_f64_e32 v[0:1], v[70:71], v[34:35]
	v_fma_f64 v[2:3], v[72:73], v[34:35], -v[2:3]
	ds_write_b128 v242, v[0:3] offset:6144
	s_waitcnt vmcnt(12)
	v_mul_f64 v[0:1], v[92:93], v[52:53]
	v_mul_f64 v[2:3], v[90:91], v[52:53]
	v_fmac_f64_e32 v[0:1], v[90:91], v[50:51]
	v_fma_f64 v[2:3], v[92:93], v[50:51], -v[2:3]
	ds_write_b128 v242, v[0:3] offset:6912
	s_waitcnt vmcnt(11)
	;; [unrolled: 6-line block ×8, first 2 shown]
	v_mul_f64 v[0:1], v[140:141], v[40:41]
	v_mul_f64 v[2:3], v[138:139], v[40:41]
	v_fmac_f64_e32 v[0:1], v[138:139], v[38:39]
	v_fma_f64 v[2:3], v[140:141], v[38:39], -v[2:3]
	ds_write_b128 v242, v[0:3] offset:12288
.LBB0_3:
	s_or_b64 exec, exec, s[14:15]
	s_load_dwordx2 s[2:3], s[0:1], 0x20
	s_load_dwordx2 s[10:11], s[0:1], 0x8
	s_waitcnt lgkmcnt(0)
	; wave barrier
	s_waitcnt lgkmcnt(0)
                                        ; implicit-def: $vgpr0_vgpr1
                                        ; implicit-def: $vgpr4_vgpr5
                                        ; implicit-def: $vgpr8_vgpr9
                                        ; implicit-def: $vgpr12_vgpr13
                                        ; implicit-def: $vgpr16_vgpr17
                                        ; implicit-def: $vgpr20_vgpr21
                                        ; implicit-def: $vgpr24_vgpr25
                                        ; implicit-def: $vgpr28_vgpr29
                                        ; implicit-def: $vgpr32_vgpr33
                                        ; implicit-def: $vgpr36_vgpr37
                                        ; implicit-def: $vgpr40_vgpr41
                                        ; implicit-def: $vgpr44_vgpr45
                                        ; implicit-def: $vgpr48_vgpr49
                                        ; implicit-def: $vgpr52_vgpr53
                                        ; implicit-def: $vgpr56_vgpr57
                                        ; implicit-def: $vgpr60_vgpr61
                                        ; implicit-def: $vgpr64_vgpr65
	s_and_saveexec_b64 s[0:1], vcc
	s_cbranch_execz .LBB0_5
; %bb.4:
	ds_read_b128 v[0:3], v242
	ds_read_b128 v[4:7], v242 offset:768
	ds_read_b128 v[8:11], v242 offset:1536
	;; [unrolled: 1-line block ×16, first 2 shown]
.LBB0_5:
	s_or_b64 exec, exec, s[0:1]
	s_mov_b32 s24, 0x5d8e7cdc
	s_waitcnt lgkmcnt(0)
	v_add_f64 v[140:141], v[6:7], -v[66:67]
	s_mov_b32 s4, 0x370991
	s_mov_b32 s25, 0xbfd71e95
	;; [unrolled: 1-line block ×3, first 2 shown]
	v_add_f64 v[122:123], v[4:5], v[64:65]
	v_add_f64 v[126:127], v[4:5], -v[64:65]
	s_mov_b32 s5, 0x3fedd6d0
	v_mul_f64 v[116:117], v[140:141], s[24:25]
	v_add_f64 v[152:153], v[10:11], -v[62:63]
	s_mov_b32 s6, 0x75d4884
	s_mov_b32 s15, 0xbfe58eea
	v_add_f64 v[160:161], v[6:7], v[66:67]
	v_mul_f64 v[118:119], v[126:127], s[24:25]
	v_fma_f64 v[68:69], s[4:5], v[122:123], v[116:117]
	v_add_f64 v[130:131], v[8:9], v[60:61]
	v_add_f64 v[136:137], v[8:9], -v[60:61]
	s_mov_b32 s7, 0x3fe7a5f6
	v_mul_f64 v[120:121], v[152:153], s[14:15]
	s_mov_b32 s34, 0x7c9e640b
	v_add_f64 v[68:69], v[0:1], v[68:69]
	v_fma_f64 v[70:71], v[160:161], s[4:5], -v[118:119]
	v_add_f64 v[172:173], v[10:11], v[62:63]
	v_mul_f64 v[124:125], v[136:137], s[14:15]
	v_fma_f64 v[72:73], s[6:7], v[130:131], v[120:121]
	v_add_f64 v[164:165], v[14:15], -v[58:59]
	s_mov_b32 s16, 0x2b2883cd
	s_mov_b32 s35, 0xbfeca52d
	v_add_f64 v[70:71], v[2:3], v[70:71]
	v_add_f64 v[68:69], v[72:73], v[68:69]
	v_fma_f64 v[72:73], v[172:173], s[6:7], -v[124:125]
	v_add_f64 v[138:139], v[12:13], v[56:57]
	v_add_f64 v[148:149], v[12:13], -v[56:57]
	s_mov_b32 s17, 0x3fdc86fa
	v_mul_f64 v[128:129], v[164:165], s[34:35]
	s_mov_b32 s20, 0xeb564b22
	v_add_f64 v[70:71], v[72:73], v[70:71]
	v_add_f64 v[184:185], v[14:15], v[58:59]
	v_mul_f64 v[132:133], v[148:149], s[34:35]
	v_fma_f64 v[72:73], s[16:17], v[138:139], v[128:129]
	v_add_f64 v[178:179], v[18:19], -v[54:55]
	s_mov_b32 s18, 0x3259b75e
	s_mov_b32 s21, 0xbfefdd0d
	v_add_f64 v[68:69], v[72:73], v[68:69]
	v_fma_f64 v[72:73], v[184:185], s[16:17], -v[132:133]
	v_add_f64 v[146:147], v[16:17], v[52:53]
	v_add_f64 v[158:159], v[16:17], -v[52:53]
	s_mov_b32 s19, 0x3fb79ee6
	v_mul_f64 v[134:135], v[178:179], s[20:21]
	s_mov_b32 s38, 0x923c349f
	v_add_f64 v[70:71], v[72:73], v[70:71]
	v_add_f64 v[198:199], v[18:19], v[54:55]
	v_mul_f64 v[142:143], v[158:159], s[20:21]
	v_fma_f64 v[72:73], s[18:19], v[146:147], v[134:135]
	v_add_f64 v[192:193], v[22:23], -v[50:51]
	s_mov_b32 s22, 0xc61f0d01
	s_mov_b32 s39, 0xbfeec746
	;; [unrolled: 14-line block ×5, first 2 shown]
	v_add_f64 v[68:69], v[72:73], v[68:69]
	v_fma_f64 v[72:73], v[200:201], s[30:31], -v[174:175]
	v_add_f64 v[190:191], v[32:33], v[36:37]
	s_mov_b32 s37, 0xbfef7484
	v_mul_f64 v[176:177], v[212:213], s[40:41]
	v_add_f64 v[210:211], v[32:33], -v[36:37]
	v_add_f64 v[70:71], v[72:73], v[70:71]
	v_fma_f64 v[72:73], s[36:37], v[190:191], v[176:177]
	v_add_f64 v[206:207], v[34:35], v[38:39]
	v_mul_f64 v[194:195], v[210:211], s[40:41]
	v_add_f64 v[80:81], v[72:73], v[68:69]
	v_fma_f64 v[68:69], v[206:207], s[36:37], -v[194:195]
	v_add_f64 v[82:83], v[68:69], v[70:71]
	s_waitcnt lgkmcnt(0)
	; wave barrier
	s_mov_b64 s[0:1], exec
	v_accvgpr_write_b32 a0, v228
	s_and_b64 s[44:45], s[0:1], vcc
	v_accvgpr_write_b32 a1, v229
	s_mov_b64 exec, s[44:45]
	s_cbranch_execz .LBB0_7
; %bb.6:
	v_mul_f64 v[100:101], v[160:161], s[36:37]
	s_mov_b32 s55, 0x3fc7851a
	s_mov_b32 s54, s40
	v_mul_f64 v[96:97], v[172:173], s[4:5]
	v_fma_f64 v[102:103], s[54:55], v[126:127], v[100:101]
	s_mov_b32 s53, 0x3fd71e95
	s_mov_b32 s52, s24
	v_mul_f64 v[216:217], v[140:141], s[40:41]
	v_mul_f64 v[92:93], v[184:185], s[30:31]
	s_mov_b32 s47, 0x3fe0d888
	s_mov_b32 s46, s42
	v_fma_f64 v[98:99], s[24:25], v[136:137], v[96:97]
	v_add_f64 v[102:103], v[2:3], v[102:103]
	v_mul_f64 v[114:115], v[152:153], s[52:53]
	v_fma_f64 v[218:219], s[36:37], v[122:123], v[216:217]
	v_mul_f64 v[88:89], v[198:199], s[6:7]
	v_fma_f64 v[94:95], s[46:47], v[148:149], v[92:93]
	v_add_f64 v[98:99], v[98:99], v[102:103]
	s_mov_b32 s59, 0x3fe58eea
	s_mov_b32 s58, s14
	v_mul_f64 v[110:111], v[164:165], s[42:43]
	v_fma_f64 v[214:215], s[4:5], v[130:131], v[114:115]
	v_add_f64 v[218:219], v[0:1], v[218:219]
	v_mul_f64 v[84:85], v[204:205], s[26:27]
	s_mov_b32 s51, 0x3fe9895b
	s_mov_b32 s50, s28
	v_fma_f64 v[90:91], s[14:15], v[158:159], v[88:89]
	v_add_f64 v[94:95], v[94:95], v[98:99]
	v_mul_f64 v[106:107], v[178:179], s[58:59]
	v_fma_f64 v[112:113], s[30:31], v[138:139], v[110:111]
	v_add_f64 v[214:215], v[214:215], v[218:219]
	v_mul_f64 v[76:77], v[188:189], s[16:17]
	v_fma_f64 v[86:87], s[50:51], v[170:171], v[84:85]
	v_add_f64 v[90:91], v[90:91], v[94:95]
	s_mov_b32 s49, 0x3feca52d
	s_mov_b32 s48, s34
	v_mul_f64 v[102:103], v[192:193], s[28:29]
	v_fma_f64 v[108:109], s[6:7], v[146:147], v[106:107]
	v_add_f64 v[112:113], v[112:113], v[214:215]
	v_mul_f64 v[74:75], v[200:201], s[22:23]
	s_mov_b32 s45, 0x3feec746
	s_mov_b32 s44, s38
	v_fma_f64 v[78:79], s[34:35], v[182:183], v[76:77]
	v_add_f64 v[86:87], v[86:87], v[90:91]
	v_mul_f64 v[94:95], v[202:203], s[48:49]
	v_fma_f64 v[104:105], s[26:27], v[156:157], v[102:103]
	v_add_f64 v[108:109], v[108:109], v[112:113]
	v_mul_f64 v[72:73], v[206:207], s[18:19]
	v_fma_f64 v[70:71], s[44:45], v[196:197], v[74:75]
	v_add_f64 v[78:79], v[78:79], v[86:87]
	s_mov_b32 s57, 0x3fefdd0d
	s_mov_b32 s56, s20
	v_mul_f64 v[86:87], v[208:209], s[38:39]
	v_fma_f64 v[98:99], s[16:17], v[168:169], v[94:95]
	v_add_f64 v[104:105], v[104:105], v[108:109]
	v_fma_f64 v[68:69], s[20:21], v[210:211], v[72:73]
	v_add_f64 v[70:71], v[70:71], v[78:79]
	v_mul_f64 v[78:79], v[212:213], s[56:57]
	v_fma_f64 v[90:91], s[22:23], v[180:181], v[86:87]
	v_add_f64 v[98:99], v[98:99], v[104:105]
	v_add_f64 v[70:71], v[68:69], v[70:71]
	v_fma_f64 v[68:69], s[18:19], v[190:191], v[78:79]
	v_add_f64 v[90:91], v[90:91], v[98:99]
	v_fmac_f64_e32 v[100:101], s[40:41], v[126:127]
	v_add_f64 v[68:69], v[68:69], v[90:91]
	v_fmac_f64_e32 v[96:97], s[52:53], v[136:137]
	;; [unrolled: 2-line block ×6, first 2 shown]
	v_add_f64 v[84:85], v[84:85], v[88:89]
	v_fma_f64 v[92:93], v[122:123], s[36:37], -v[216:217]
	v_mul_f64 v[108:109], v[160:161], s[30:31]
	v_fmac_f64_e32 v[74:75], s[38:39], v[196:197]
	v_add_f64 v[76:77], v[76:77], v[84:85]
	v_fma_f64 v[88:89], v[138:139], s[30:31], -v[110:111]
	v_fma_f64 v[90:91], v[130:131], s[4:5], -v[114:115]
	v_add_f64 v[92:93], v[0:1], v[92:93]
	v_mul_f64 v[104:105], v[172:173], s[16:17]
	v_fma_f64 v[110:111], s[46:47], v[126:127], v[108:109]
	v_mul_f64 v[224:225], v[140:141], s[42:43]
	v_add_f64 v[74:75], v[74:75], v[76:77]
	v_fma_f64 v[76:77], v[180:181], s[22:23], -v[86:87]
	v_fma_f64 v[86:87], v[146:147], s[6:7], -v[106:107]
	v_add_f64 v[90:91], v[90:91], v[92:93]
	v_mul_f64 v[100:101], v[184:185], s[18:19]
	v_fma_f64 v[106:107], s[34:35], v[136:137], v[104:105]
	v_add_f64 v[110:111], v[2:3], v[110:111]
	v_mul_f64 v[220:221], v[152:153], s[48:49]
	v_fma_f64 v[226:227], s[30:31], v[122:123], v[224:225]
	v_fma_f64 v[84:85], v[156:157], s[26:27], -v[102:103]
	v_add_f64 v[88:89], v[88:89], v[90:91]
	v_mul_f64 v[96:97], v[198:199], s[26:27]
	v_fma_f64 v[102:103], s[56:57], v[148:149], v[100:101]
	v_add_f64 v[106:107], v[106:107], v[110:111]
	v_mul_f64 v[216:217], v[164:165], s[20:21]
	v_fma_f64 v[222:223], s[16:17], v[130:131], v[220:221]
	v_add_f64 v[226:227], v[0:1], v[226:227]
	v_fmac_f64_e32 v[72:73], s[56:57], v[210:211]
	v_add_f64 v[86:87], v[86:87], v[88:89]
	v_mul_f64 v[92:93], v[204:205], s[4:5]
	v_fma_f64 v[98:99], s[28:29], v[158:159], v[96:97]
	v_add_f64 v[102:103], v[102:103], v[106:107]
	v_mul_f64 v[114:115], v[178:179], s[50:51]
	v_fma_f64 v[218:219], s[18:19], v[138:139], v[216:217]
	v_add_f64 v[222:223], v[222:223], v[226:227]
	v_add_f64 v[74:75], v[72:73], v[74:75]
	v_fma_f64 v[72:73], v[190:191], s[18:19], -v[78:79]
	v_fma_f64 v[78:79], v[168:169], s[16:17], -v[94:95]
	v_add_f64 v[84:85], v[84:85], v[86:87]
	v_mul_f64 v[88:89], v[188:189], s[36:37]
	v_fma_f64 v[94:95], s[52:53], v[170:171], v[92:93]
	v_add_f64 v[98:99], v[98:99], v[102:103]
	v_mul_f64 v[110:111], v[192:193], s[24:25]
	v_fma_f64 v[214:215], s[26:27], v[146:147], v[114:115]
	v_add_f64 v[218:219], v[218:219], v[222:223]
	v_add_f64 v[78:79], v[78:79], v[84:85]
	v_mul_f64 v[86:87], v[200:201], s[6:7]
	v_fma_f64 v[90:91], s[54:55], v[182:183], v[88:89]
	v_add_f64 v[94:95], v[94:95], v[98:99]
	v_mul_f64 v[102:103], v[202:203], s[40:41]
	v_fma_f64 v[112:113], s[4:5], v[156:157], v[110:111]
	v_add_f64 v[214:215], v[214:215], v[218:219]
	;; [unrolled: 7-line block ×3, first 2 shown]
	v_add_f64 v[72:73], v[72:73], v[76:77]
	v_fma_f64 v[76:77], s[44:45], v[210:211], v[84:85]
	v_add_f64 v[78:79], v[78:79], v[90:91]
	v_mul_f64 v[90:91], v[212:213], s[38:39]
	v_fma_f64 v[98:99], s[6:7], v[180:181], v[94:95]
	v_add_f64 v[106:107], v[106:107], v[112:113]
	v_add_f64 v[78:79], v[76:77], v[78:79]
	v_fma_f64 v[76:77], s[22:23], v[190:191], v[90:91]
	v_add_f64 v[98:99], v[98:99], v[106:107]
	v_fmac_f64_e32 v[108:109], s[42:43], v[126:127]
	v_add_f64 v[76:77], v[76:77], v[98:99]
	v_fmac_f64_e32 v[104:105], s[48:49], v[136:137]
	;; [unrolled: 2-line block ×6, first 2 shown]
	v_add_f64 v[92:93], v[92:93], v[96:97]
	v_fma_f64 v[100:101], v[122:123], s[30:31], -v[224:225]
	v_mul_f64 v[214:215], v[160:161], s[26:27]
	v_fmac_f64_e32 v[86:87], s[58:59], v[196:197]
	v_add_f64 v[88:89], v[88:89], v[92:93]
	v_fma_f64 v[96:97], v[138:139], s[18:19], -v[216:217]
	v_fma_f64 v[98:99], v[130:131], s[16:17], -v[220:221]
	v_add_f64 v[100:101], v[0:1], v[100:101]
	v_mul_f64 v[112:113], v[172:173], s[22:23]
	v_fma_f64 v[216:217], s[50:51], v[126:127], v[214:215]
	v_mul_f64 v[232:233], v[140:141], s[28:29]
	v_add_f64 v[86:87], v[86:87], v[88:89]
	v_fma_f64 v[88:89], v[180:181], s[6:7], -v[94:95]
	v_fma_f64 v[94:95], v[146:147], s[26:27], -v[114:115]
	v_add_f64 v[98:99], v[98:99], v[100:101]
	v_mul_f64 v[108:109], v[184:185], s[4:5]
	v_fma_f64 v[114:115], s[38:39], v[136:137], v[112:113]
	v_add_f64 v[216:217], v[2:3], v[216:217]
	v_mul_f64 v[228:229], v[152:153], s[44:45]
	v_fma_f64 v[234:235], s[26:27], v[122:123], v[232:233]
	v_fma_f64 v[92:93], v[156:157], s[4:5], -v[110:111]
	v_add_f64 v[96:97], v[96:97], v[98:99]
	v_mul_f64 v[104:105], v[198:199], s[30:31]
	v_fma_f64 v[110:111], s[52:53], v[148:149], v[108:109]
	v_add_f64 v[114:115], v[114:115], v[216:217]
	v_mul_f64 v[224:225], v[164:165], s[24:25]
	v_mov_b32_e32 v254, v230
	v_fma_f64 v[230:231], s[22:23], v[130:131], v[228:229]
	v_add_f64 v[234:235], v[0:1], v[234:235]
	v_fmac_f64_e32 v[84:85], s[38:39], v[210:211]
	v_add_f64 v[94:95], v[94:95], v[96:97]
	v_mul_f64 v[100:101], v[204:205], s[18:19]
	v_fma_f64 v[106:107], s[46:47], v[158:159], v[104:105]
	v_add_f64 v[110:111], v[110:111], v[114:115]
	v_mul_f64 v[220:221], v[178:179], s[42:43]
	v_fma_f64 v[226:227], s[4:5], v[138:139], v[224:225]
	v_add_f64 v[230:231], v[230:231], v[234:235]
	v_add_f64 v[86:87], v[84:85], v[86:87]
	v_fma_f64 v[84:85], v[190:191], s[22:23], -v[90:91]
	v_fma_f64 v[90:91], v[168:169], s[36:37], -v[102:103]
	v_add_f64 v[92:93], v[92:93], v[94:95]
	v_mul_f64 v[96:97], v[188:189], s[6:7]
	v_fma_f64 v[102:103], s[20:21], v[170:171], v[100:101]
	v_add_f64 v[106:107], v[106:107], v[110:111]
	v_mul_f64 v[216:217], v[192:193], s[56:57]
	v_fma_f64 v[222:223], s[30:31], v[146:147], v[220:221]
	v_add_f64 v[226:227], v[226:227], v[230:231]
	v_add_f64 v[90:91], v[90:91], v[92:93]
	v_mul_f64 v[94:95], v[200:201], s[36:37]
	v_fma_f64 v[98:99], s[58:59], v[182:183], v[96:97]
	v_add_f64 v[102:103], v[102:103], v[106:107]
	v_mul_f64 v[110:111], v[202:203], s[14:15]
	v_fma_f64 v[218:219], s[18:19], v[156:157], v[216:217]
	v_add_f64 v[222:223], v[222:223], v[226:227]
	;; [unrolled: 7-line block ×3, first 2 shown]
	v_add_f64 v[84:85], v[84:85], v[88:89]
	v_fma_f64 v[88:89], s[34:35], v[210:211], v[92:93]
	v_add_f64 v[90:91], v[90:91], v[98:99]
	v_mul_f64 v[98:99], v[212:213], s[48:49]
	v_fma_f64 v[106:107], s[36:37], v[180:181], v[102:103]
	v_add_f64 v[114:115], v[114:115], v[218:219]
	v_add_f64 v[90:91], v[88:89], v[90:91]
	v_fma_f64 v[88:89], s[16:17], v[190:191], v[98:99]
	v_add_f64 v[106:107], v[106:107], v[114:115]
	v_fmac_f64_e32 v[214:215], s[28:29], v[126:127]
	v_add_f64 v[88:89], v[88:89], v[106:107]
	v_fmac_f64_e32 v[112:113], s[44:45], v[136:137]
	;; [unrolled: 2-line block ×6, first 2 shown]
	v_add_f64 v[100:101], v[100:101], v[104:105]
	v_fma_f64 v[108:109], v[122:123], s[26:27], -v[232:233]
	v_mul_f64 v[222:223], v[160:161], s[22:23]
	v_fmac_f64_e32 v[94:95], s[40:41], v[196:197]
	v_add_f64 v[96:97], v[96:97], v[100:101]
	v_fma_f64 v[104:105], v[138:139], s[4:5], -v[224:225]
	v_fma_f64 v[106:107], v[130:131], s[22:23], -v[228:229]
	v_add_f64 v[108:109], v[0:1], v[108:109]
	v_mul_f64 v[218:219], v[172:173], s[30:31]
	v_fma_f64 v[224:225], s[44:45], v[126:127], v[222:223]
	v_mul_f64 v[240:241], v[140:141], s[38:39]
	v_add_f64 v[94:95], v[94:95], v[96:97]
	v_fma_f64 v[96:97], v[180:181], s[36:37], -v[102:103]
	v_fma_f64 v[102:103], v[146:147], s[30:31], -v[220:221]
	v_add_f64 v[106:107], v[106:107], v[108:109]
	v_mul_f64 v[214:215], v[184:185], s[6:7]
	v_fma_f64 v[220:221], s[42:43], v[136:137], v[218:219]
	v_add_f64 v[224:225], v[2:3], v[224:225]
	v_mul_f64 v[236:237], v[152:153], s[46:47]
	v_fma_f64 v[244:245], s[22:23], v[122:123], v[240:241]
	v_fma_f64 v[100:101], v[156:157], s[18:19], -v[216:217]
	v_add_f64 v[104:105], v[104:105], v[106:107]
	v_mul_f64 v[112:113], v[198:199], s[16:17]
	v_fma_f64 v[216:217], s[14:15], v[148:149], v[214:215]
	v_add_f64 v[220:221], v[220:221], v[224:225]
	v_mul_f64 v[232:233], v[164:165], s[58:59]
	v_fma_f64 v[238:239], s[30:31], v[130:131], v[236:237]
	v_add_f64 v[244:245], v[0:1], v[244:245]
	v_fmac_f64_e32 v[92:93], s[48:49], v[210:211]
	v_add_f64 v[102:103], v[102:103], v[104:105]
	v_mul_f64 v[108:109], v[204:205], s[36:37]
	v_fma_f64 v[114:115], s[48:49], v[158:159], v[112:113]
	v_add_f64 v[216:217], v[216:217], v[220:221]
	v_mul_f64 v[228:229], v[178:179], s[34:35]
	v_fma_f64 v[234:235], s[6:7], v[138:139], v[232:233]
	v_add_f64 v[238:239], v[238:239], v[244:245]
	v_add_f64 v[94:95], v[92:93], v[94:95]
	v_fma_f64 v[92:93], v[190:191], s[16:17], -v[98:99]
	v_fma_f64 v[98:99], v[168:169], s[6:7], -v[110:111]
	v_add_f64 v[100:101], v[100:101], v[102:103]
	v_mul_f64 v[104:105], v[188:189], s[18:19]
	v_fma_f64 v[110:111], s[54:55], v[170:171], v[108:109]
	v_add_f64 v[114:115], v[114:115], v[216:217]
	v_mul_f64 v[224:225], v[192:193], s[40:41]
	v_fma_f64 v[230:231], s[16:17], v[146:147], v[228:229]
	v_add_f64 v[234:235], v[234:235], v[238:239]
	v_add_f64 v[98:99], v[98:99], v[100:101]
	v_mul_f64 v[102:103], v[200:201], s[4:5]
	v_fma_f64 v[106:107], s[20:21], v[182:183], v[104:105]
	v_add_f64 v[110:111], v[110:111], v[114:115]
	v_mul_f64 v[216:217], v[202:203], s[56:57]
	v_fma_f64 v[226:227], s[36:37], v[156:157], v[224:225]
	v_add_f64 v[230:231], v[230:231], v[234:235]
	;; [unrolled: 7-line block ×3, first 2 shown]
	v_add_f64 v[92:93], v[92:93], v[96:97]
	v_fma_f64 v[96:97], s[50:51], v[210:211], v[100:101]
	v_add_f64 v[98:99], v[98:99], v[106:107]
	v_mul_f64 v[106:107], v[212:213], s[28:29]
	v_fma_f64 v[114:115], s[4:5], v[180:181], v[110:111]
	v_add_f64 v[220:221], v[220:221], v[226:227]
	v_add_f64 v[98:99], v[96:97], v[98:99]
	v_fma_f64 v[96:97], s[26:27], v[190:191], v[106:107]
	v_add_f64 v[114:115], v[114:115], v[220:221]
	v_fmac_f64_e32 v[222:223], s[38:39], v[126:127]
	v_add_f64 v[96:97], v[96:97], v[114:115]
	v_fmac_f64_e32 v[218:219], s[46:47], v[136:137]
	;; [unrolled: 2-line block ×6, first 2 shown]
	v_add_f64 v[108:109], v[108:109], v[112:113]
	v_fma_f64 v[214:215], v[122:123], s[22:23], -v[240:241]
	v_mul_f64 v[230:231], v[160:161], s[18:19]
	v_fmac_f64_e32 v[102:103], s[24:25], v[196:197]
	v_add_f64 v[104:105], v[104:105], v[108:109]
	v_fma_f64 v[112:113], v[138:139], s[6:7], -v[232:233]
	v_fma_f64 v[114:115], v[130:131], s[30:31], -v[236:237]
	v_add_f64 v[214:215], v[0:1], v[214:215]
	v_mul_f64 v[226:227], v[172:173], s[36:37]
	v_fma_f64 v[232:233], s[56:57], v[126:127], v[230:231]
	v_mul_f64 v[246:247], v[140:141], s[20:21]
	v_add_f64 v[102:103], v[102:103], v[104:105]
	v_fma_f64 v[104:105], v[180:181], s[4:5], -v[110:111]
	v_fma_f64 v[110:111], v[146:147], s[16:17], -v[228:229]
	v_add_f64 v[114:115], v[114:115], v[214:215]
	v_mul_f64 v[222:223], v[184:185], s[22:23]
	v_fma_f64 v[228:229], s[54:55], v[136:137], v[226:227]
	v_add_f64 v[232:233], v[2:3], v[232:233]
	v_mul_f64 v[240:241], v[152:153], s[40:41]
	v_fma_f64 v[248:249], s[18:19], v[122:123], v[246:247]
	v_fma_f64 v[108:109], v[156:157], s[36:37], -v[224:225]
	v_add_f64 v[112:113], v[112:113], v[114:115]
	v_mul_f64 v[218:219], v[198:199], s[4:5]
	v_fma_f64 v[224:225], s[38:39], v[148:149], v[222:223]
	v_add_f64 v[228:229], v[228:229], v[232:233]
	v_mul_f64 v[238:239], v[164:165], s[44:45]
	v_fma_f64 v[244:245], s[36:37], v[130:131], v[240:241]
	v_add_f64 v[248:249], v[0:1], v[248:249]
	v_fmac_f64_e32 v[100:101], s[28:29], v[210:211]
	v_add_f64 v[110:111], v[110:111], v[112:113]
	v_mul_f64 v[214:215], v[204:205], s[16:17]
	v_fma_f64 v[220:221], s[24:25], v[158:159], v[218:219]
	v_add_f64 v[224:225], v[224:225], v[228:229]
	v_mul_f64 v[236:237], v[178:179], s[52:53]
	v_add_f64 v[244:245], v[244:245], v[248:249]
	v_fma_f64 v[248:249], s[22:23], v[138:139], v[238:239]
	v_add_f64 v[102:103], v[100:101], v[102:103]
	v_fma_f64 v[100:101], v[190:191], s[26:27], -v[106:107]
	v_fma_f64 v[106:107], v[168:169], s[18:19], -v[216:217]
	v_add_f64 v[108:109], v[108:109], v[110:111]
	v_mul_f64 v[112:113], v[188:189], s[30:31]
	v_fma_f64 v[216:217], s[48:49], v[170:171], v[214:215]
	v_add_f64 v[220:221], v[220:221], v[224:225]
	v_mul_f64 v[232:233], v[192:193], s[34:35]
	v_add_f64 v[244:245], v[248:249], v[244:245]
	v_fma_f64 v[248:249], s[4:5], v[146:147], v[236:237]
	v_add_f64 v[106:107], v[106:107], v[108:109]
	v_mul_f64 v[110:111], v[200:201], s[26:27]
	v_fma_f64 v[114:115], s[46:47], v[182:183], v[112:113]
	v_add_f64 v[216:217], v[216:217], v[220:221]
	v_mul_f64 v[224:225], v[202:203], s[42:43]
	v_fma_f64 v[234:235], s[16:17], v[156:157], v[232:233]
	v_add_f64 v[244:245], v[248:249], v[244:245]
	v_add_f64 v[104:105], v[104:105], v[106:107]
	v_mul_f64 v[108:109], v[206:207], s[6:7]
	v_fma_f64 v[106:107], s[28:29], v[196:197], v[110:111]
	v_add_f64 v[114:115], v[114:115], v[216:217]
	v_mul_f64 v[220:221], v[208:209], s[50:51]
	v_fma_f64 v[228:229], s[30:31], v[168:169], v[224:225]
	v_add_f64 v[234:235], v[234:235], v[244:245]
	v_add_f64 v[100:101], v[100:101], v[104:105]
	v_fma_f64 v[104:105], s[14:15], v[210:211], v[108:109]
	v_add_f64 v[106:107], v[106:107], v[114:115]
	v_mul_f64 v[216:217], v[212:213], s[58:59]
	v_fma_f64 v[114:115], s[26:27], v[180:181], v[220:221]
	v_add_f64 v[228:229], v[228:229], v[234:235]
	v_add_f64 v[106:107], v[104:105], v[106:107]
	v_fma_f64 v[104:105], s[6:7], v[190:191], v[216:217]
	v_add_f64 v[114:115], v[114:115], v[228:229]
	v_fmac_f64_e32 v[230:231], s[20:21], v[126:127]
	v_add_f64 v[104:105], v[104:105], v[114:115]
	v_fmac_f64_e32 v[226:227], s[40:41], v[136:137]
	;; [unrolled: 2-line block ×8, first 2 shown]
	v_add_f64 v[110:111], v[110:111], v[112:113]
	v_fma_f64 v[222:223], v[122:123], s[18:19], -v[246:247]
	v_add_f64 v[114:115], v[108:109], v[110:111]
	v_fma_f64 v[110:111], v[180:181], s[26:27], -v[220:221]
	v_fma_f64 v[218:219], v[138:139], s[22:23], -v[238:239]
	v_fma_f64 v[220:221], v[130:131], s[36:37], -v[240:241]
	v_add_f64 v[222:223], v[0:1], v[222:223]
	v_mul_f64 v[238:239], v[160:161], s[16:17]
	v_add_f64 v[220:221], v[220:221], v[222:223]
	v_mul_f64 v[234:235], v[172:173], s[26:27]
	v_fma_f64 v[240:241], s[48:49], v[126:127], v[238:239]
	v_fma_f64 v[108:109], v[190:191], s[6:7], -v[216:217]
	v_fma_f64 v[216:217], v[146:147], s[4:5], -v[236:237]
	v_add_f64 v[218:219], v[218:219], v[220:221]
	v_mul_f64 v[230:231], v[184:185], s[36:37]
	v_fma_f64 v[236:237], s[50:51], v[136:137], v[234:235]
	v_add_f64 v[240:241], v[2:3], v[240:241]
	v_fma_f64 v[214:215], v[156:157], s[16:17], -v[232:233]
	v_add_f64 v[216:217], v[216:217], v[218:219]
	v_mul_f64 v[226:227], v[198:199], s[22:23]
	v_fma_f64 v[232:233], s[40:41], v[148:149], v[230:231]
	v_add_f64 v[236:237], v[236:237], v[240:241]
	v_fma_f64 v[112:113], v[168:169], s[30:31], -v[224:225]
	v_add_f64 v[214:215], v[214:215], v[216:217]
	v_mul_f64 v[222:223], v[204:205], s[6:7]
	v_fma_f64 v[228:229], s[38:39], v[158:159], v[226:227]
	v_add_f64 v[232:233], v[232:233], v[236:237]
	v_add_f64 v[112:113], v[112:113], v[214:215]
	v_mul_f64 v[218:219], v[188:189], s[4:5]
	v_fma_f64 v[224:225], s[14:15], v[170:171], v[222:223]
	v_add_f64 v[228:229], v[228:229], v[232:233]
	v_add_f64 v[110:111], v[110:111], v[112:113]
	v_mul_f64 v[216:217], v[200:201], s[18:19]
	v_fma_f64 v[220:221], s[52:53], v[182:183], v[218:219]
	v_add_f64 v[224:225], v[224:225], v[228:229]
	;; [unrolled: 4-line block ×3, first 2 shown]
	v_mul_f64 v[246:247], v[140:141], s[34:35]
	v_fma_f64 v[108:109], s[46:47], v[210:211], v[214:215]
	v_add_f64 v[110:111], v[110:111], v[220:221]
	v_mul_f64 v[244:245], v[152:153], s[28:29]
	v_fma_f64 v[248:249], s[16:17], v[122:123], v[246:247]
	v_fmac_f64_e32 v[238:239], s[34:35], v[126:127]
	v_add_f64 v[110:111], v[108:109], v[110:111]
	v_mul_f64 v[240:241], v[164:165], s[54:55]
	v_fma_f64 v[108:109], s[26:27], v[130:131], v[244:245]
	v_add_f64 v[248:249], v[0:1], v[248:249]
	v_fmac_f64_e32 v[234:235], s[28:29], v[136:137]
	v_add_f64 v[238:239], v[2:3], v[238:239]
	v_mul_f64 v[236:237], v[178:179], s[44:45]
	v_add_f64 v[108:109], v[108:109], v[248:249]
	v_fma_f64 v[248:249], s[36:37], v[138:139], v[240:241]
	v_add_f64 v[234:235], v[234:235], v[238:239]
	v_fmac_f64_e32 v[230:231], s[54:55], v[148:149]
	v_mul_f64 v[232:233], v[192:193], s[58:59]
	v_add_f64 v[108:109], v[248:249], v[108:109]
	v_fma_f64 v[248:249], s[22:23], v[146:147], v[236:237]
	v_add_f64 v[230:231], v[230:231], v[234:235]
	v_fmac_f64_e32 v[226:227], s[44:45], v[158:159]
	;; [unrolled: 5-line block ×5, first 2 shown]
	v_fma_f64 v[246:247], v[122:123], s[16:17], -v[246:247]
	v_add_f64 v[108:109], v[248:249], v[108:109]
	v_fma_f64 v[248:249], s[30:31], v[190:191], v[220:221]
	v_add_f64 v[216:217], v[216:217], v[218:219]
	v_fma_f64 v[244:245], v[130:131], s[26:27], -v[244:245]
	v_add_f64 v[246:247], v[0:1], v[246:247]
	v_fmac_f64_e32 v[214:215], s[42:43], v[210:211]
	v_add_f64 v[108:109], v[248:249], v[108:109]
	v_mul_f64 v[248:249], v[160:161], s[4:5]
	v_add_f64 v[244:245], v[244:245], v[246:247]
	v_add_f64 v[216:217], v[214:215], v[216:217]
	v_fma_f64 v[214:215], v[190:191], s[30:31], -v[220:221]
	v_fma_f64 v[220:221], v[180:181], s[18:19], -v[224:225]
	;; [unrolled: 1-line block ×6, first 2 shown]
	v_mul_f64 v[160:161], v[160:161], s[6:7]
	v_mul_f64 v[238:239], v[172:173], s[6:7]
	v_add_f64 v[236:237], v[236:237], v[244:245]
	v_mul_f64 v[172:173], v[172:173], s[18:19]
	v_fma_f64 v[244:245], s[58:59], v[126:127], v[160:161]
	v_mul_f64 v[230:231], v[184:185], s[16:17]
	v_mul_f64 v[246:247], v[204:205], s[22:23]
	;; [unrolled: 1-line block ×4, first 2 shown]
	v_fma_f64 v[204:205], s[56:57], v[136:137], v[172:173]
	v_add_f64 v[244:245], v[2:3], v[244:245]
	v_mul_f64 v[222:223], v[198:199], s[18:19]
	v_mul_f64 v[198:199], v[198:199], s[36:37]
	v_add_f64 v[204:205], v[204:205], v[244:245]
	v_fma_f64 v[244:245], s[50:51], v[148:149], v[184:185]
	v_add_f64 v[232:233], v[232:233], v[236:237]
	v_add_f64 v[204:205], v[244:245], v[204:205]
	v_fma_f64 v[244:245], s[54:55], v[158:159], v[198:199]
	v_add_f64 v[228:229], v[228:229], v[232:233]
	v_mul_f64 v[236:237], v[188:189], s[22:23]
	v_add_f64 v[204:205], v[244:245], v[204:205]
	v_fma_f64 v[244:245], s[42:43], v[170:171], v[240:241]
	v_add_f64 v[224:225], v[224:225], v[228:229]
	v_mul_f64 v[228:229], v[200:201], s[16:17]
	v_add_f64 v[204:205], v[244:245], v[204:205]
	v_fma_f64 v[244:245], s[38:39], v[182:183], v[236:237]
	v_fma_f64 v[232:233], s[34:35], v[196:197], v[228:229]
	v_add_f64 v[204:205], v[244:245], v[204:205]
	v_mul_f64 v[186:187], v[122:123], s[4:5]
	v_add_f64 v[204:205], v[232:233], v[204:205]
	v_mul_f64 v[232:233], v[140:141], s[14:15]
	v_fma_f64 v[140:141], s[6:7], v[122:123], v[232:233]
	v_fmac_f64_e32 v[160:161], s[14:15], v[126:127]
	v_fma_f64 v[122:123], v[122:123], s[6:7], -v[232:233]
	v_add_f64 v[118:119], v[118:119], v[248:249]
	v_add_f64 v[116:117], v[186:187], -v[116:117]
	v_add_f64 v[140:141], v[0:1], v[140:141]
	v_add_f64 v[126:127], v[2:3], v[160:161]
	v_add_f64 v[122:123], v[0:1], v[122:123]
	v_add_f64 v[118:119], v[2:3], v[118:119]
	v_add_f64 v[116:117], v[0:1], v[116:117]
	v_add_f64 v[2:3], v[2:3], v[6:7]
	v_add_f64 v[0:1], v[0:1], v[4:5]
	v_add_f64 v[220:221], v[220:221], v[224:225]
	v_add_f64 v[2:3], v[2:3], v[10:11]
	v_add_f64 v[0:1], v[0:1], v[8:9]
	v_add_f64 v[214:215], v[214:215], v[220:221]
	v_mul_f64 v[220:221], v[206:207], s[4:5]
	v_add_f64 v[2:3], v[2:3], v[14:15]
	v_add_f64 v[0:1], v[0:1], v[12:13]
	v_fma_f64 v[224:225], s[24:25], v[210:211], v[220:221]
	v_mul_f64 v[152:153], v[152:153], s[20:21]
	v_add_f64 v[2:3], v[2:3], v[18:19]
	v_add_f64 v[0:1], v[0:1], v[16:17]
	v_mul_f64 v[250:251], v[130:131], s[6:7]
	v_add_f64 v[204:205], v[224:225], v[204:205]
	v_mul_f64 v[224:225], v[202:203], s[44:45]
	v_mul_f64 v[164:165], v[164:165], s[28:29]
	v_fma_f64 v[202:203], s[18:19], v[130:131], v[152:153]
	v_fmac_f64_e32 v[172:173], s[20:21], v[136:137]
	v_fma_f64 v[130:131], v[130:131], s[18:19], -v[152:153]
	v_add_f64 v[2:3], v[2:3], v[22:23]
	v_add_f64 v[0:1], v[0:1], v[20:21]
	v_mul_f64 v[234:235], v[138:139], s[16:17]
	v_mul_f64 v[178:179], v[178:179], s[40:41]
	v_add_f64 v[140:141], v[202:203], v[140:141]
	v_fma_f64 v[202:203], s[26:27], v[138:139], v[164:165]
	v_fmac_f64_e32 v[184:185], s[28:29], v[148:149]
	v_add_f64 v[126:127], v[172:173], v[126:127]
	v_fma_f64 v[138:139], v[138:139], s[26:27], -v[164:165]
	v_add_f64 v[122:123], v[130:131], v[122:123]
	v_add_f64 v[2:3], v[2:3], v[26:27]
	;; [unrolled: 1-line block ×3, first 2 shown]
	v_mul_f64 v[226:227], v[146:147], s[18:19]
	v_mul_f64 v[192:193], v[192:193], s[46:47]
	v_add_f64 v[140:141], v[202:203], v[140:141]
	v_fma_f64 v[202:203], s[36:37], v[146:147], v[178:179]
	v_fmac_f64_e32 v[198:199], s[40:41], v[158:159]
	v_add_f64 v[126:127], v[184:185], v[126:127]
	v_fma_f64 v[146:147], v[146:147], s[36:37], -v[178:179]
	v_add_f64 v[122:123], v[138:139], v[122:123]
	v_add_f64 v[2:3], v[2:3], v[30:31]
	;; [unrolled: 1-line block ×3, first 2 shown]
	v_mul_f64 v[218:219], v[156:157], s[22:23]
	v_add_f64 v[140:141], v[202:203], v[140:141]
	v_fma_f64 v[202:203], s[30:31], v[156:157], v[192:193]
	v_fmac_f64_e32 v[240:241], s[46:47], v[170:171]
	v_add_f64 v[126:127], v[198:199], v[126:127]
	v_fma_f64 v[156:157], v[156:157], s[30:31], -v[192:193]
	v_add_f64 v[122:123], v[146:147], v[122:123]
	v_add_f64 v[124:125], v[124:125], v[238:239]
	;; [unrolled: 1-line block ×4, first 2 shown]
	v_mul_f64 v[208:209], v[208:209], s[48:49]
	v_add_f64 v[140:141], v[202:203], v[140:141]
	v_fma_f64 v[202:203], s[22:23], v[168:169], v[224:225]
	v_fmac_f64_e32 v[236:237], s[44:45], v[182:183]
	v_add_f64 v[126:127], v[240:241], v[126:127]
	v_fma_f64 v[148:149], v[168:169], s[22:23], -v[224:225]
	v_add_f64 v[122:123], v[156:157], v[122:123]
	v_add_f64 v[132:133], v[132:133], v[230:231]
	;; [unrolled: 1-line block ×5, first 2 shown]
	v_mul_f64 v[212:213], v[212:213], s[52:53]
	v_add_f64 v[140:141], v[202:203], v[140:141]
	v_fma_f64 v[202:203], s[16:17], v[180:181], v[208:209]
	v_fmac_f64_e32 v[228:229], s[48:49], v[196:197]
	v_add_f64 v[126:127], v[236:237], v[126:127]
	v_fma_f64 v[136:137], v[180:181], s[16:17], -v[208:209]
	v_add_f64 v[122:123], v[148:149], v[122:123]
	v_add_f64 v[142:143], v[142:143], v[222:223]
	;; [unrolled: 1-line block ×3, first 2 shown]
	v_add_f64 v[120:121], v[250:251], -v[120:121]
	v_add_f64 v[2:3], v[2:3], v[42:43]
	v_add_f64 v[0:1], v[0:1], v[40:41]
	;; [unrolled: 1-line block ×3, first 2 shown]
	v_fma_f64 v[202:203], s[4:5], v[190:191], v[212:213]
	v_mul_f64 v[188:189], v[188:189], s[26:27]
	v_fmac_f64_e32 v[220:221], s[52:53], v[210:211]
	v_add_f64 v[126:127], v[228:229], v[126:127]
	v_add_f64 v[122:123], v[136:137], v[122:123]
	;; [unrolled: 1-line block ×4, first 2 shown]
	v_add_f64 v[128:129], v[234:235], -v[128:129]
	v_add_f64 v[116:117], v[120:121], v[116:117]
	v_add_f64 v[2:3], v[2:3], v[46:47]
	;; [unrolled: 1-line block ×4, first 2 shown]
	v_mul_f64 v[200:201], v[200:201], s[30:31]
	v_add_f64 v[140:141], v[220:221], v[126:127]
	v_fma_f64 v[126:127], v[190:191], s[4:5], -v[212:213]
	v_add_f64 v[130:131], v[162:163], v[188:189]
	v_add_f64 v[118:119], v[136:137], v[118:119]
	v_add_f64 v[132:133], v[226:227], -v[134:135]
	v_add_f64 v[116:117], v[128:129], v[116:117]
	v_add_f64 v[2:3], v[2:3], v[50:51]
	;; [unrolled: 1-line block ×3, first 2 shown]
	v_mul_f64 v[244:245], v[168:169], s[26:27]
	v_accvgpr_read_b32 v229, a1
	v_add_f64 v[138:139], v[126:127], v[122:123]
	v_add_f64 v[126:127], v[174:175], v[200:201]
	;; [unrolled: 1-line block ×3, first 2 shown]
	v_add_f64 v[130:131], v[218:219], -v[144:145]
	v_add_f64 v[116:117], v[132:133], v[116:117]
	v_add_f64 v[2:3], v[2:3], v[54:55]
	;; [unrolled: 1-line block ×3, first 2 shown]
	v_mul_f64 v[252:253], v[180:181], s[30:31]
	v_mul_f64 v[206:207], v[206:207], s[36:37]
	v_accvgpr_read_b32 v228, a0
	v_add_f64 v[118:119], v[126:127], v[118:119]
	v_add_f64 v[126:127], v[244:245], -v[154:155]
	v_add_f64 v[116:117], v[130:131], v[116:117]
	v_add_f64 v[2:3], v[2:3], v[58:59]
	;; [unrolled: 1-line block ×3, first 2 shown]
	v_mul_f64 v[210:211], v[190:191], s[36:37]
	v_add_f64 v[122:123], v[194:195], v[206:207]
	v_add_f64 v[124:125], v[252:253], -v[166:167]
	v_add_f64 v[116:117], v[126:127], v[116:117]
	v_add_f64 v[2:3], v[2:3], v[62:63]
	;; [unrolled: 1-line block ×3, first 2 shown]
	v_mul_lo_u16_e32 v4, 17, v228
	v_mov_b32_e32 v230, v254
	v_add_f64 v[118:119], v[122:123], v[118:119]
	v_add_f64 v[122:123], v[210:211], -v[176:177]
	v_add_f64 v[116:117], v[124:125], v[116:117]
	v_add_f64 v[2:3], v[2:3], v[66:67]
	;; [unrolled: 1-line block ×3, first 2 shown]
	v_lshlrev_b32_e32 v4, 4, v4
	v_add_f64 v[116:117], v[122:123], v[116:117]
	ds_write_b128 v4, v[0:3]
	ds_write_b128 v4, v[116:119] offset:16
	ds_write_b128 v4, v[138:141] offset:32
	;; [unrolled: 1-line block ×16, first 2 shown]
.LBB0_7:
	s_or_b64 exec, exec, s[0:1]
	s_movk_i32 s0, 0xf1
	v_add_u16_e32 v8, 51, v228
	v_mul_lo_u16_sdwa v9, v8, s0 dst_sel:DWORD dst_unused:UNUSED_PAD src0_sel:BYTE_0 src1_sel:DWORD
	v_mul_lo_u16_sdwa v0, v228, s0 dst_sel:DWORD dst_unused:UNUSED_PAD src0_sel:BYTE_0 src1_sel:DWORD
	v_lshrrev_b16_e32 v114, 12, v9
	v_lshrrev_b16_e32 v112, 12, v0
	v_mul_lo_u16_e32 v1, 17, v114
	v_mul_lo_u16_e32 v0, 17, v112
	v_sub_u16_e32 v1, v8, v1
	v_add_u16_e32 v6, 0x66, v228
	v_add_u16_e32 v4, 0x99, v228
	v_mov_b32_e32 v55, 4
	v_sub_u16_e32 v113, v228, v0
	v_and_b32_e32 v115, 0xff, v1
	v_mul_lo_u16_sdwa v7, v6, s0 dst_sel:DWORD dst_unused:UNUSED_PAD src0_sel:BYTE_0 src1_sel:DWORD
	v_mul_lo_u16_sdwa v5, v4, s0 dst_sel:DWORD dst_unused:UNUSED_PAD src0_sel:BYTE_0 src1_sel:DWORD
	v_lshlrev_b32_sdwa v0, v55, v113 dst_sel:DWORD dst_unused:UNUSED_PAD src0_sel:DWORD src1_sel:BYTE_0
	v_lshlrev_b32_e32 v1, 4, v115
	v_lshrrev_b16_e32 v116, 12, v7
	v_lshrrev_b16_e32 v118, 12, v5
	s_load_dwordx4 s[4:7], s[2:3], 0x0
	s_waitcnt lgkmcnt(0)
	; wave barrier
	s_waitcnt lgkmcnt(0)
	global_load_dwordx4 v[236:239], v0, s[10:11]
	global_load_dwordx4 v[232:235], v1, s[10:11]
	v_mul_lo_u16_e32 v0, 17, v116
	v_mul_lo_u16_e32 v1, 17, v118
	v_sub_u16_e32 v0, v6, v0
	v_sub_u16_e32 v1, v4, v1
	v_and_b32_e32 v117, 0xff, v0
	v_and_b32_e32 v119, 0xff, v1
	v_lshlrev_b32_e32 v0, 4, v117
	v_lshlrev_b32_e32 v1, 4, v119
	v_add_u16_e32 v12, 0xcc, v228
	global_load_dwordx4 v[92:95], v0, s[10:11]
	global_load_dwordx4 v[96:99], v1, s[10:11]
	v_mul_lo_u16_sdwa v1, v12, s0 dst_sel:DWORD dst_unused:UNUSED_PAD src0_sel:BYTE_0 src1_sel:DWORD
	v_lshrrev_b16_e32 v120, 12, v1
	v_mul_lo_u16_e32 v0, 17, v120
	v_sub_u16_e32 v0, v12, v0
	v_add_u16_e32 v13, 0xff, v228
	v_and_b32_e32 v121, 0xff, v0
	v_mul_u32_u24_e32 v0, 0xf0f1, v13
	v_lshrrev_b32_e32 v122, 20, v0
	v_mul_lo_u16_e32 v3, 17, v122
	v_lshlrev_b32_e32 v2, 4, v121
	v_sub_u16_e32 v123, v13, v3
	v_add_u16_e32 v14, 0x132, v228
	v_lshlrev_b32_e32 v3, 4, v123
	global_load_dwordx4 v[100:103], v2, s[10:11]
	global_load_dwordx4 v[104:107], v3, s[10:11]
	v_mul_u32_u24_e32 v2, 0xf0f1, v14
	v_lshrrev_b32_e32 v124, 20, v2
	v_mul_lo_u16_e32 v2, 17, v124
	v_add_u16_e32 v15, 0x165, v228
	v_sub_u16_e32 v125, v14, v2
	v_mul_u32_u24_e32 v3, 0xf0f1, v15
	v_lshlrev_b32_e32 v2, 4, v125
	v_lshrrev_b32_e32 v126, 20, v3
	global_load_dwordx4 v[108:111], v2, s[10:11]
	v_mul_lo_u16_e32 v2, 17, v126
	v_sub_u16_e32 v127, v15, v2
	v_lshlrev_b32_e32 v2, 4, v127
	global_load_dwordx4 v[128:131], v2, s[10:11]
	v_lshlrev_b32_sdwa v54, v55, v228 dst_sel:DWORD dst_unused:UNUSED_PAD src0_sel:DWORD src1_sel:WORD_0
	ds_read_b128 v[16:19], v54
	ds_read_b128 v[20:23], v54 offset:816
	ds_read_b128 v[24:27], v54 offset:6528
	;; [unrolled: 1-line block ×15, first 2 shown]
	s_waitcnt lgkmcnt(0)
	; wave barrier
	s_waitcnt lgkmcnt(0)
	v_cmp_gt_u16_e64 s[0:1], 17, v228
                                        ; implicit-def: $vgpr144_vgpr145
	s_waitcnt vmcnt(7)
	v_mul_f64 v[2:3], v[26:27], v[238:239]
	v_mul_f64 v[10:11], v[24:25], v[238:239]
	v_fma_f64 v[2:3], v[24:25], v[236:237], -v[2:3]
	s_waitcnt vmcnt(6)
	v_mul_f64 v[24:25], v[30:31], v[234:235]
	v_mul_f64 v[52:53], v[28:29], v[234:235]
	v_fma_f64 v[28:29], v[28:29], v[232:233], -v[24:25]
	v_fmac_f64_e32 v[10:11], v[26:27], v[236:237]
	v_fmac_f64_e32 v[52:53], v[30:31], v[232:233]
	v_add_f64 v[26:27], v[18:19], -v[10:11]
	v_add_f64 v[28:29], v[20:21], -v[28:29]
	s_waitcnt vmcnt(5)
	v_mul_f64 v[24:25], v[42:43], v[94:95]
	v_fma_f64 v[88:89], v[40:41], v[92:93], -v[24:25]
	v_mul_f64 v[90:91], v[40:41], v[94:95]
	v_accvgpr_write_b32 a16, v92
	s_waitcnt vmcnt(4)
	v_mul_f64 v[24:25], v[46:47], v[98:99]
	v_accvgpr_write_b32 a17, v93
	v_accvgpr_write_b32 a18, v94
	;; [unrolled: 1-line block ×3, first 2 shown]
	v_fmac_f64_e32 v[90:91], v[42:43], v[92:93]
	v_fma_f64 v[92:93], v[44:45], v[96:97], -v[24:25]
	v_mul_f64 v[94:95], v[44:45], v[98:99]
	v_accvgpr_write_b32 a12, v96
	v_accvgpr_write_b32 a13, v97
	;; [unrolled: 1-line block ×3, first 2 shown]
	s_waitcnt vmcnt(3)
	v_mul_f64 v[24:25], v[62:63], v[102:103]
	v_accvgpr_write_b32 a15, v99
	v_fmac_f64_e32 v[94:95], v[46:47], v[96:97]
	v_fma_f64 v[96:97], v[60:61], v[100:101], -v[24:25]
	v_mul_f64 v[98:99], v[60:61], v[102:103]
	v_accvgpr_write_b32 a32, v100
	s_waitcnt vmcnt(2)
	v_mul_f64 v[24:25], v[66:67], v[106:107]
	v_accvgpr_write_b32 a33, v101
	v_accvgpr_write_b32 a34, v102
	v_accvgpr_write_b32 a35, v103
	v_fmac_f64_e32 v[98:99], v[62:63], v[100:101]
	v_fma_f64 v[100:101], v[64:65], v[104:105], -v[24:25]
	v_mul_f64 v[102:103], v[64:65], v[106:107]
	v_accvgpr_write_b32 a28, v104
	s_waitcnt vmcnt(1)
	v_mul_f64 v[24:25], v[78:79], v[110:111]
	v_accvgpr_write_b32 a29, v105
	v_accvgpr_write_b32 a30, v106
	;; [unrolled: 9-line block ×3, first 2 shown]
	v_accvgpr_write_b32 a43, v111
	v_fmac_f64_e32 v[106:107], v[78:79], v[108:109]
	v_fma_f64 v[108:109], v[84:85], v[128:129], -v[24:25]
	v_add_f64 v[24:25], v[16:17], -v[2:3]
	v_mad_legacy_u16 v2, v112, 34, v113
	v_lshlrev_b32_sdwa v231, v55, v2 dst_sel:DWORD dst_unused:UNUSED_PAD src0_sel:DWORD src1_sel:BYTE_0
	v_mul_lo_u16_e32 v2, 34, v114
	v_add_f64 v[30:31], v[22:23], -v[52:53]
	v_and_b32_e32 v2, 0xfe, v2
	v_fma_f64 v[16:17], v[16:17], 2.0, -v[24:25]
	v_fma_f64 v[18:19], v[18:19], 2.0, -v[26:27]
	;; [unrolled: 1-line block ×4, first 2 shown]
	v_add_lshl_u32 v2, v2, v115, 4
	v_add_f64 v[40:41], v[32:33], -v[88:89]
	v_add_f64 v[42:43], v[34:35], -v[90:91]
	ds_write_b128 v231, v[16:19]
	ds_write_b128 v231, v[24:27] offset:272
	ds_write_b128 v2, v[20:23]
	v_accvgpr_write_b32 a1, v2
	ds_write_b128 v2, v[28:31] offset:272
	v_mul_u32_u24_e32 v2, 34, v116
	v_fma_f64 v[32:33], v[32:33], 2.0, -v[40:41]
	v_fma_f64 v[34:35], v[34:35], 2.0, -v[42:43]
	v_add_lshl_u32 v2, v2, v117, 4
	v_add_f64 v[44:45], v[36:37], -v[92:93]
	v_add_f64 v[46:47], v[38:39], -v[94:95]
	ds_write_b128 v2, v[32:35]
	v_accvgpr_write_b32 a3, v2
	ds_write_b128 v2, v[40:43] offset:272
	v_mul_u32_u24_e32 v2, 34, v118
	v_fma_f64 v[36:37], v[36:37], 2.0, -v[44:45]
	v_fma_f64 v[38:39], v[38:39], 2.0, -v[46:47]
	v_add_lshl_u32 v2, v2, v119, 4
	v_add_f64 v[60:61], v[48:49], -v[96:97]
	v_add_f64 v[62:63], v[50:51], -v[98:99]
	;; [unrolled: 9-line block ×3, first 2 shown]
	ds_write_b128 v2, v[48:51]
	v_accvgpr_write_b32 a45, v2
	ds_write_b128 v2, v[60:63] offset:272
	v_mad_legacy_u16 v2, v122, 34, v123
	v_fma_f64 v[56:57], v[56:57], 2.0, -v[64:65]
	v_fma_f64 v[58:59], v[58:59], 2.0, -v[66:67]
	v_lshlrev_b32_e32 v2, 4, v2
	v_mul_f64 v[110:111], v[84:85], v[130:131]
	v_add_f64 v[76:77], v[68:69], -v[104:105]
	v_add_f64 v[78:79], v[70:71], -v[106:107]
	ds_write_b128 v2, v[56:59]
	v_accvgpr_write_b32 a46, v2
	ds_write_b128 v2, v[64:67] offset:272
	v_mad_legacy_u16 v2, v124, 34, v125
	v_fmac_f64_e32 v[110:111], v[86:87], v[128:129]
	v_fma_f64 v[68:69], v[68:69], 2.0, -v[76:77]
	v_fma_f64 v[70:71], v[70:71], 2.0, -v[78:79]
	v_lshlrev_b32_e32 v2, 4, v2
	v_add_f64 v[84:85], v[72:73], -v[108:109]
	v_add_f64 v[86:87], v[74:75], -v[110:111]
	ds_write_b128 v2, v[68:71]
	v_accvgpr_write_b32 a47, v2
	ds_write_b128 v2, v[76:79] offset:272
	v_mad_legacy_u16 v2, v126, 34, v127
	v_accvgpr_write_b32 a36, v128
	v_fma_f64 v[72:73], v[72:73], 2.0, -v[84:85]
	v_fma_f64 v[74:75], v[74:75], 2.0, -v[86:87]
	v_lshlrev_b32_e32 v2, 4, v2
	v_accvgpr_write_b32 a37, v129
	v_accvgpr_write_b32 a38, v130
	v_accvgpr_write_b32 a39, v131
	ds_write_b128 v2, v[72:75]
	ds_write_b128 v2, v[84:87] offset:272
	s_waitcnt lgkmcnt(0)
	; wave barrier
	s_waitcnt lgkmcnt(0)
	ds_read_b128 v[104:107], v54
	ds_read_b128 v[100:103], v54 offset:816
	ds_read_b128 v[116:119], v54 offset:8704
	;; [unrolled: 1-line block ×14, first 2 shown]
	v_accvgpr_write_b32 a48, v2
	s_and_saveexec_b64 s[2:3], s[0:1]
	s_cbranch_execz .LBB0_9
; %bb.8:
	ds_read_b128 v[84:87], v54 offset:4080
	ds_read_b128 v[80:83], v54 offset:8432
	;; [unrolled: 1-line block ×3, first 2 shown]
.LBB0_9:
	s_or_b64 exec, exec, s[2:3]
	s_movk_i32 s2, 0xffde
	s_mov_b32 s3, -1
	v_lshl_add_u64 v[2:3], v[228:229], 0, s[2:3]
	v_cmp_gt_u16_e64 s[2:3], 34, v228
	v_lshrrev_b16_e32 v60, 13, v7
	v_mul_lo_u16_e32 v7, 34, v60
	v_cndmask_b32_e64 v3, v3, 0, s[2:3]
	v_cndmask_b32_e64 v2, v2, v228, s[2:3]
	v_lshlrev_b64 v[10:11], 5, v[2:3]
	v_lshrrev_b16_e32 v3, 13, v9
	v_mul_lo_u16_e32 v9, 34, v3
	v_lshl_add_u64 v[10:11], s[10:11], 0, v[10:11]
	v_sub_u16_e32 v8, v8, v9
	global_load_dwordx4 v[76:79], v[10:11], off offset:288
	global_load_dwordx4 v[148:151], v[10:11], off offset:272
	v_and_b32_e32 v55, 0xff, v8
	v_sub_u16_e32 v6, v6, v7
	v_lshlrev_b32_e32 v8, 5, v55
	v_and_b32_e32 v61, 0xff, v6
	v_lshrrev_b16_e32 v62, 13, v5
	global_load_dwordx4 v[152:155], v8, s[10:11] offset:288
	global_load_dwordx4 v[156:159], v8, s[10:11] offset:272
	v_lshlrev_b32_e32 v6, 5, v61
	v_mul_lo_u16_e32 v5, 34, v62
	global_load_dwordx4 v[160:163], v6, s[10:11] offset:288
	global_load_dwordx4 v[164:167], v6, s[10:11] offset:272
	v_sub_u16_e32 v4, v4, v5
	v_and_b32_e32 v63, 0xff, v4
	v_lshrrev_b16_e32 v64, 13, v1
	v_lshlrev_b32_e32 v4, 5, v63
	v_mul_lo_u16_e32 v1, 34, v64
	global_load_dwordx4 v[168:171], v4, s[10:11] offset:288
	global_load_dwordx4 v[172:175], v4, s[10:11] offset:272
	v_sub_u16_e32 v1, v12, v1
	v_and_b32_e32 v65, 0xff, v1
	v_lshlrev_b32_e32 v1, 5, v65
	v_lshrrev_b32_e32 v0, 21, v0
	global_load_dwordx4 v[176:179], v1, s[10:11] offset:288
	global_load_dwordx4 v[180:183], v1, s[10:11] offset:272
	v_mul_lo_u16_e32 v0, 34, v0
	v_sub_u16_e32 v66, v13, v0
	v_lshlrev_b16_e32 v0, 5, v66
	v_mov_b32_e32 v1, 0
	v_lshl_add_u64 v[4:5], s[10:11], 0, v[0:1]
	global_load_dwordx4 v[72:75], v[4:5], off offset:272
	global_load_dwordx4 v[68:71], v[4:5], off offset:288
	s_mov_b32 s2, 0xe8584caa
	s_mov_b32 s3, 0x3febb67a
	;; [unrolled: 1-line block ×4, first 2 shown]
	v_mov_b32_e32 v0, 0x66
	s_waitcnt lgkmcnt(0)
	; wave barrier
	s_waitcnt vmcnt(11) lgkmcnt(0)
	v_mul_f64 v[6:7], v[118:119], v[78:79]
	s_waitcnt vmcnt(10)
	v_mul_f64 v[4:5], v[142:143], v[150:151]
	v_mul_f64 v[22:23], v[140:141], v[150:151]
	;; [unrolled: 1-line block ×3, first 2 shown]
	v_fma_f64 v[50:51], v[140:141], v[148:149], -v[4:5]
	v_fma_f64 v[58:59], v[116:117], v[76:77], -v[6:7]
	s_waitcnt vmcnt(9)
	v_mul_f64 v[32:33], v[16:17], v[154:155]
	v_mul_f64 v[10:11], v[18:19], v[154:155]
	v_fmac_f64_e32 v[22:23], v[142:143], v[148:149]
	v_fmac_f64_e32 v[24:25], v[118:119], v[76:77]
	;; [unrolled: 1-line block ×3, first 2 shown]
	v_add_f64 v[18:19], v[50:51], v[58:59]
	s_waitcnt vmcnt(8)
	v_mul_f64 v[8:9], v[126:127], v[158:159]
	s_waitcnt vmcnt(6)
	v_mul_f64 v[20:21], v[110:111], v[166:167]
	v_fma_f64 v[118:119], v[16:17], v[152:153], -v[10:11]
	v_add_f64 v[16:17], v[104:105], v[50:51]
	v_fmac_f64_e32 v[104:105], -0.5, v[18:19]
	v_add_f64 v[18:19], v[22:23], -v[24:25]
	v_mul_f64 v[30:31], v[124:125], v[158:159]
	v_mul_f64 v[38:39], v[108:109], v[166:167]
	;; [unrolled: 1-line block ×3, first 2 shown]
	v_fma_f64 v[116:117], v[124:125], v[156:157], -v[8:9]
	v_fma_f64 v[108:109], v[108:109], v[164:165], -v[20:21]
	v_fma_f64 v[20:21], s[2:3], v[18:19], v[104:105]
	v_fmac_f64_e32 v[104:105], s[14:15], v[18:19]
	v_add_f64 v[18:19], v[106:107], v[22:23]
	v_add_f64 v[22:23], v[22:23], v[24:25]
	v_fmac_f64_e32 v[30:31], v[126:127], v[156:157]
	v_fmac_f64_e32 v[38:39], v[110:111], v[164:165]
	v_fma_f64 v[110:111], v[128:129], v[160:161], -v[26:27]
	v_add_f64 v[18:19], v[18:19], v[24:25]
	v_fmac_f64_e32 v[106:107], -0.5, v[22:23]
	v_add_f64 v[24:25], v[50:51], -v[58:59]
	v_add_f64 v[26:27], v[116:117], v[118:119]
	s_waitcnt vmcnt(4)
	v_mul_f64 v[28:29], v[138:139], v[174:175]
	v_fma_f64 v[22:23], s[14:15], v[24:25], v[106:107]
	v_fmac_f64_e32 v[106:107], s[2:3], v[24:25]
	v_add_f64 v[24:25], v[100:101], v[116:117]
	v_fmac_f64_e32 v[100:101], -0.5, v[26:27]
	v_add_f64 v[26:27], v[30:31], -v[32:33]
	v_mul_f64 v[40:41], v[128:129], v[162:163]
	v_mul_f64 v[34:35], v[114:115], v[170:171]
	v_fma_f64 v[124:125], v[136:137], v[172:173], -v[28:29]
	v_fma_f64 v[28:29], s[2:3], v[26:27], v[100:101]
	v_fmac_f64_e32 v[100:101], s[14:15], v[26:27]
	v_add_f64 v[26:27], v[102:103], v[30:31]
	v_add_f64 v[30:31], v[30:31], v[32:33]
	v_mul_f64 v[48:49], v[112:113], v[170:171]
	v_fmac_f64_e32 v[40:41], v[130:131], v[160:161]
	v_fma_f64 v[112:113], v[112:113], v[168:169], -v[34:35]
	v_add_f64 v[26:27], v[26:27], v[32:33]
	v_fmac_f64_e32 v[102:103], -0.5, v[30:31]
	v_add_f64 v[32:33], v[116:117], -v[118:119]
	v_add_f64 v[34:35], v[108:109], v[110:111]
	s_waitcnt vmcnt(2)
	v_mul_f64 v[36:37], v[134:135], v[182:183]
	v_fma_f64 v[30:31], s[14:15], v[32:33], v[102:103]
	v_fmac_f64_e32 v[102:103], s[2:3], v[32:33]
	v_add_f64 v[32:33], v[96:97], v[108:109]
	v_fmac_f64_e32 v[96:97], -0.5, v[34:35]
	v_add_f64 v[34:35], v[38:39], -v[40:41]
	v_mul_f64 v[46:47], v[136:137], v[174:175]
	v_mul_f64 v[42:43], v[122:123], v[178:179]
	v_fmac_f64_e32 v[48:49], v[114:115], v[168:169]
	v_fma_f64 v[114:115], v[132:133], v[180:181], -v[36:37]
	v_fma_f64 v[36:37], s[2:3], v[34:35], v[96:97]
	v_fmac_f64_e32 v[96:97], s[14:15], v[34:35]
	v_add_f64 v[34:35], v[98:99], v[38:39]
	v_add_f64 v[38:39], v[38:39], v[40:41]
	v_mul_f64 v[56:57], v[120:121], v[178:179]
	v_fmac_f64_e32 v[46:47], v[138:139], v[172:173]
	v_fma_f64 v[120:121], v[120:121], v[176:177], -v[42:43]
	v_add_f64 v[34:35], v[34:35], v[40:41]
	v_fmac_f64_e32 v[98:99], -0.5, v[38:39]
	v_add_f64 v[40:41], v[108:109], -v[110:111]
	v_add_f64 v[42:43], v[124:125], v[112:113]
	s_waitcnt vmcnt(1)
	v_mul_f64 v[44:45], v[82:83], v[74:75]
	v_fma_f64 v[38:39], s[14:15], v[40:41], v[98:99]
	v_fmac_f64_e32 v[98:99], s[2:3], v[40:41]
	v_add_f64 v[40:41], v[92:93], v[124:125]
	v_fmac_f64_e32 v[92:93], -0.5, v[42:43]
	v_add_f64 v[42:43], v[46:47], -v[48:49]
	v_mul_f64 v[52:53], v[132:133], v[182:183]
	v_fma_f64 v[4:5], v[80:81], v[72:73], -v[44:45]
	v_fma_f64 v[44:45], s[2:3], v[42:43], v[92:93]
	v_fmac_f64_e32 v[92:93], s[14:15], v[42:43]
	v_add_f64 v[42:43], v[94:95], v[46:47]
	v_add_f64 v[46:47], v[46:47], v[48:49]
	v_fmac_f64_e32 v[52:53], v[134:135], v[180:181]
	v_fmac_f64_e32 v[56:57], v[122:123], v[176:177]
	v_add_f64 v[42:43], v[42:43], v[48:49]
	v_fmac_f64_e32 v[94:95], -0.5, v[46:47]
	v_add_f64 v[48:49], v[124:125], -v[112:113]
	v_add_f64 v[50:51], v[114:115], v[120:121]
	v_fma_f64 v[46:47], s[14:15], v[48:49], v[94:95]
	v_fmac_f64_e32 v[94:95], s[2:3], v[48:49]
	v_add_f64 v[48:49], v[88:89], v[114:115]
	v_fmac_f64_e32 v[88:89], -0.5, v[50:51]
	v_add_f64 v[50:51], v[52:53], -v[56:57]
	s_waitcnt vmcnt(0)
	v_mul_f64 v[6:7], v[146:147], v[70:71]
	v_fma_f64 v[108:109], s[2:3], v[50:51], v[88:89]
	v_fmac_f64_e32 v[88:89], s[14:15], v[50:51]
	v_add_f64 v[50:51], v[90:91], v[52:53]
	v_add_f64 v[52:53], v[52:53], v[56:57]
	v_mul_f64 v[8:9], v[80:81], v[74:75]
	v_fma_f64 v[6:7], v[144:145], v[68:69], -v[6:7]
	v_mul_f64 v[10:11], v[144:145], v[70:71]
	v_fmac_f64_e32 v[90:91], -0.5, v[52:53]
	v_add_f64 v[52:53], v[114:115], -v[120:121]
	v_fmac_f64_e32 v[8:9], v[82:83], v[72:73]
	v_fmac_f64_e32 v[10:11], v[146:147], v[68:69]
	v_add_f64 v[32:33], v[32:33], v[110:111]
	v_fma_f64 v[110:111], s[14:15], v[52:53], v[90:91]
	v_fmac_f64_e32 v[90:91], s[2:3], v[52:53]
	v_add_f64 v[52:53], v[4:5], v[6:7]
	v_accvgpr_write_b32 a62, v156
	v_fma_f64 v[80:81], -0.5, v[52:53], v[84:85]
	v_add_f64 v[52:53], v[8:9], -v[10:11]
	v_accvgpr_write_b32 a63, v157
	v_accvgpr_write_b32 a64, v158
	;; [unrolled: 1-line block ×3, first 2 shown]
	v_fma_f64 v[156:157], s[2:3], v[52:53], v[80:81]
	v_fmac_f64_e32 v[80:81], s[14:15], v[52:53]
	v_add_f64 v[52:53], v[8:9], v[10:11]
	v_fma_f64 v[82:83], -0.5, v[52:53], v[86:87]
	v_add_f64 v[52:53], v[4:5], -v[6:7]
	v_fma_f64 v[158:159], s[14:15], v[52:53], v[82:83]
	v_fmac_f64_e32 v[82:83], s[2:3], v[52:53]
	v_cmp_lt_u16_e64 s[2:3], 33, v228
	v_add_f64 v[16:17], v[16:17], v[58:59]
	v_add_f64 v[24:25], v[24:25], v[118:119]
	v_cndmask_b32_e64 v0, 0, v0, s[2:3]
	v_add_lshl_u32 v229, v2, v0, 4
	v_mul_u32_u24_e32 v0, 0x66, v3
	v_add_lshl_u32 v0, v0, v55, 4
	ds_write_b128 v229, v[16:19]
	ds_write_b128 v229, v[20:23] offset:544
	ds_write_b128 v229, v[104:107] offset:1088
	ds_write_b128 v0, v[24:27]
	ds_write_b128 v0, v[28:31] offset:544
	v_accvgpr_write_b32 a95, v0
	ds_write_b128 v0, v[100:103] offset:1088
	v_mul_u32_u24_e32 v0, 0x66, v60
	v_add_lshl_u32 v0, v0, v61, 4
	ds_write_b128 v0, v[32:35]
	ds_write_b128 v0, v[36:39] offset:544
	v_accvgpr_write_b32 a96, v0
	ds_write_b128 v0, v[96:99] offset:1088
	v_mul_u32_u24_e32 v0, 0x66, v62
	v_add_f64 v[40:41], v[40:41], v[112:113]
	v_add_lshl_u32 v0, v0, v63, 4
	v_accvgpr_write_b32 a54, v148
	v_accvgpr_write_b32 a50, v76
	;; [unrolled: 1-line block ×11, first 2 shown]
	ds_write_b128 v0, v[40:43]
	ds_write_b128 v0, v[44:47] offset:544
	v_accvgpr_write_b32 a97, v0
	ds_write_b128 v0, v[92:95] offset:1088
	v_mul_u32_u24_e32 v0, 0x66, v64
	v_accvgpr_write_b32 a55, v149
	v_accvgpr_write_b32 a56, v150
	;; [unrolled: 1-line block ×33, first 2 shown]
	v_add_f64 v[48:49], v[48:49], v[120:121]
	v_add_f64 v[50:51], v[50:51], v[56:57]
	v_add_lshl_u32 v100, v0, v65, 4
	v_lshlrev_b32_e32 v228, 4, v66
	ds_write_b128 v100, v[48:51]
	ds_write_b128 v100, v[108:111] offset:544
	ds_write_b128 v100, v[88:91] offset:1088
	s_and_saveexec_b64 s[2:3], s[0:1]
	s_cbranch_execz .LBB0_11
; %bb.10:
	v_add_f64 v[2:3], v[86:87], v[8:9]
	v_add_f64 v[8:9], v[2:3], v[10:11]
	;; [unrolled: 1-line block ×4, first 2 shown]
	ds_write_b128 v228, v[6:9] offset:11424
	ds_write_b128 v228, v[156:159] offset:11968
	;; [unrolled: 1-line block ×3, first 2 shown]
.LBB0_11:
	s_or_b64 exec, exec, s[2:3]
	s_movk_i32 s2, 0xa1
	v_mul_u32_u24_e32 v3, 0xa0a1, v14
	v_mul_u32_u24_e32 v4, 0xa0a1, v15
	v_mul_lo_u16_sdwa v5, v12, s2 dst_sel:DWORD dst_unused:UNUSED_PAD src0_sel:BYTE_0 src1_sel:DWORD
	v_mul_u32_u24_e32 v2, 0xa0a1, v13
	v_lshrrev_b32_e32 v3, 22, v3
	v_lshrrev_b32_e32 v4, 22, v4
	v_lshrrev_b16_e32 v5, 14, v5
	s_waitcnt lgkmcnt(0)
	; wave barrier
	s_waitcnt lgkmcnt(0)
	global_load_dwordx4 v[84:87], v242, s[10:11] offset:1360
	global_load_dwordx4 v[88:91], v242, s[10:11] offset:2176
	v_lshrrev_b32_e32 v2, 22, v2
	v_mul_lo_u16_e32 v3, 0x66, v3
	v_mul_lo_u16_e32 v4, 0x66, v4
	;; [unrolled: 1-line block ×3, first 2 shown]
	v_mov_b32_e32 v0, 4
	v_mul_lo_u16_e32 v2, 0x66, v2
	v_sub_u16_e32 v3, v14, v3
	v_sub_u16_e32 v4, v15, v4
	;; [unrolled: 1-line block ×4, first 2 shown]
	v_lshlrev_b32_e32 v72, 4, v3
	v_lshlrev_b32_e32 v73, 4, v4
	v_lshlrev_b32_sdwa v74, v0, v5 dst_sel:DWORD dst_unused:UNUSED_PAD src0_sel:DWORD src1_sel:BYTE_0
	global_load_dwordx4 v[64:67], v72, s[10:11] offset:1360
	global_load_dwordx4 v[60:63], v73, s[10:11] offset:1360
	;; [unrolled: 1-line block ×3, first 2 shown]
	v_lshlrev_b32_e32 v55, 4, v2
	global_load_dwordx4 v[68:71], v55, s[10:11] offset:1360
	ds_read_b128 v[2:5], v54
	ds_read_b128 v[6:9], v54 offset:816
	ds_read_b128 v[10:13], v54 offset:6528
	;; [unrolled: 1-line block ×15, first 2 shown]
	v_mov_b32_e32 v243, v1
	v_lshl_add_u64 v[16:17], s[10:11], 0, v[242:243]
	s_movk_i32 s16, 0x1000
	s_waitcnt lgkmcnt(0)
	; wave barrier
	s_waitcnt lgkmcnt(0)
	s_movk_i32 s17, 0x2000
	v_accvgpr_write_b32 a92, v74
	v_accvgpr_write_b32 a86, v72
	v_accvgpr_write_b32 a49, v73
	s_waitcnt vmcnt(5)
	v_mul_f64 v[0:1], v[12:13], v[86:87]
	v_mul_f64 v[14:15], v[10:11], v[86:87]
	s_waitcnt vmcnt(4)
	v_mul_f64 v[56:57], v[20:21], v[90:91]
	v_mul_f64 v[58:59], v[18:19], v[90:91]
	v_fma_f64 v[0:1], v[10:11], v[84:85], -v[0:1]
	v_fmac_f64_e32 v[14:15], v[12:13], v[84:85]
	v_fma_f64 v[18:19], v[18:19], v[88:89], -v[56:57]
	v_fmac_f64_e32 v[58:59], v[20:21], v[88:89]
	v_mul_f64 v[126:127], v[30:31], v[86:87]
	v_mul_f64 v[130:131], v[34:35], v[90:91]
	v_add_f64 v[10:11], v[2:3], -v[0:1]
	v_add_f64 v[12:13], v[4:5], -v[14:15]
	;; [unrolled: 1-line block ×4, first 2 shown]
	v_mul_f64 v[124:125], v[32:33], v[86:87]
	v_mul_f64 v[128:129], v[36:37], v[90:91]
	v_fmac_f64_e32 v[126:127], v[32:33], v[84:85]
	v_fmac_f64_e32 v[130:131], v[36:37], v[88:89]
	v_fma_f64 v[0:1], v[2:3], 2.0, -v[10:11]
	v_fma_f64 v[2:3], v[4:5], 2.0, -v[12:13]
	;; [unrolled: 1-line block ×4, first 2 shown]
	s_waitcnt vmcnt(3)
	v_mul_f64 v[8:9], v[118:119], v[66:67]
	v_mul_f64 v[14:15], v[116:117], v[66:67]
	s_waitcnt vmcnt(2)
	v_mul_f64 v[32:33], v[122:123], v[62:63]
	v_mul_f64 v[56:57], v[120:121], v[62:63]
	;; [unrolled: 3-line block ×3, first 2 shown]
	v_fma_f64 v[30:31], v[30:31], v[84:85], -v[124:125]
	v_fma_f64 v[34:35], v[34:35], v[88:89], -v[128:129]
	s_waitcnt vmcnt(0)
	v_mul_f64 v[124:125], v[52:53], v[70:71]
	v_mul_f64 v[128:129], v[50:51], v[70:71]
	v_fma_f64 v[8:9], v[116:117], v[64:65], -v[8:9]
	v_fmac_f64_e32 v[14:15], v[118:119], v[64:65]
	v_fma_f64 v[120:121], v[120:121], v[60:61], -v[32:33]
	v_fmac_f64_e32 v[56:57], v[122:123], v[60:61]
	;; [unrolled: 2-line block ×4, first 2 shown]
	v_add_f64 v[30:31], v[22:23], -v[30:31]
	v_add_f64 v[32:33], v[24:25], -v[126:127]
	;; [unrolled: 1-line block ×10, first 2 shown]
	v_fma_f64 v[22:23], v[22:23], 2.0, -v[30:31]
	v_fma_f64 v[24:25], v[24:25], 2.0, -v[32:33]
	;; [unrolled: 1-line block ×6, first 2 shown]
	v_add_f64 v[50:51], v[42:43], -v[50:51]
	v_add_f64 v[52:53], v[44:45], -v[128:129]
	v_fma_f64 v[108:109], v[108:109], 2.0, -v[116:117]
	v_fma_f64 v[110:111], v[110:111], 2.0, -v[118:119]
	;; [unrolled: 1-line block ×4, first 2 shown]
	ds_write_b128 v54, v[0:3]
	ds_write_b128 v54, v[10:13] offset:1632
	ds_write_b128 v54, v[4:7] offset:816
	;; [unrolled: 1-line block ×8, first 2 shown]
	v_add_co_u32_e64 v0, s[2:3], s16, v16
	v_fma_f64 v[42:43], v[42:43], 2.0, -v[50:51]
	v_fma_f64 v[44:45], v[44:45], 2.0, -v[52:53]
	ds_write_b128 v74, v[46:49] offset:8160
	ds_write_b128 v55, v[42:45] offset:6528
	;; [unrolled: 1-line block ×7, first 2 shown]
	s_waitcnt lgkmcnt(0)
	; wave barrier
	s_waitcnt lgkmcnt(0)
	global_load_dwordx4 v[108:111], v242, s[10:11] offset:2992
	global_load_dwordx4 v[112:115], v242, s[10:11] offset:3808
	v_addc_co_u32_e64 v1, s[2:3], 0, v17, s[2:3]
	global_load_dwordx4 v[116:119], v[0:1], off offset:528
	global_load_dwordx4 v[120:123], v[0:1], off offset:1344
	ds_read_b128 v[2:5], v54
	ds_read_b128 v[6:9], v54 offset:816
	ds_read_b128 v[10:13], v54 offset:6528
	;; [unrolled: 1-line block ×15, first 2 shown]
	s_waitcnt lgkmcnt(0)
	; wave barrier
	s_waitcnt lgkmcnt(0)
	v_accvgpr_write_b32 a105, v67
	v_accvgpr_write_b32 a101, v63
	;; [unrolled: 1-line block ×12, first 2 shown]
	s_waitcnt vmcnt(3)
	v_mul_f64 v[56:57], v[10:11], v[110:111]
	v_mul_f64 v[14:15], v[12:13], v[110:111]
	s_waitcnt vmcnt(2)
	v_mul_f64 v[58:59], v[20:21], v[114:115]
	v_fmac_f64_e32 v[56:57], v[12:13], v[108:109]
	v_mul_f64 v[12:13], v[48:49], v[110:111]
	s_waitcnt vmcnt(0)
	v_mul_f64 v[146:147], v[36:37], v[122:123]
	v_fma_f64 v[10:11], v[10:11], v[108:109], -v[14:15]
	v_fma_f64 v[14:15], v[18:19], v[112:113], -v[58:59]
	;; [unrolled: 1-line block ×3, first 2 shown]
	v_mul_f64 v[12:13], v[52:53], v[114:115]
	v_mul_f64 v[148:149], v[34:35], v[122:123]
	v_fma_f64 v[34:35], v[34:35], v[120:121], -v[146:147]
	v_fma_f64 v[146:147], v[50:51], v[112:113], -v[12:13]
	v_mul_f64 v[12:13], v[134:135], v[118:119]
	v_mul_f64 v[142:143], v[32:33], v[118:119]
	v_fma_f64 v[152:153], v[132:133], v[116:117], -v[12:13]
	v_mul_f64 v[154:155], v[132:133], v[118:119]
	v_mul_f64 v[12:13], v[138:139], v[122:123]
	;; [unrolled: 1-line block ×5, first 2 shown]
	v_fma_f64 v[30:31], v[30:31], v[116:117], -v[142:143]
	v_mul_f64 v[142:143], v[46:47], v[110:111]
	v_mul_f64 v[150:151], v[50:51], v[114:115]
	v_fmac_f64_e32 v[154:155], v[134:135], v[116:117]
	v_fma_f64 v[160:161], v[136:137], v[120:121], -v[12:13]
	v_fmac_f64_e32 v[162:163], v[138:139], v[120:121]
	v_fmac_f64_e32 v[140:141], v[20:21], v[112:113]
	;; [unrolled: 1-line block ×6, first 2 shown]
	v_add_f64 v[10:11], v[2:3], -v[10:11]
	v_add_f64 v[12:13], v[4:5], -v[56:57]
	;; [unrolled: 1-line block ×6, first 2 shown]
	v_fma_f64 v[2:3], v[2:3], 2.0, -v[10:11]
	v_fma_f64 v[4:5], v[4:5], 2.0, -v[12:13]
	v_add_f64 v[18:19], v[6:7], -v[14:15]
	v_add_f64 v[20:21], v[8:9], -v[140:141]
	;; [unrolled: 1-line block ×10, first 2 shown]
	v_fma_f64 v[124:125], v[124:125], 2.0, -v[132:133]
	v_fma_f64 v[126:127], v[126:127], 2.0, -v[134:135]
	;; [unrolled: 1-line block ×14, first 2 shown]
	ds_write_b128 v54, v[2:5]
	ds_write_b128 v54, v[10:13] offset:3264
	ds_write_b128 v54, v[6:9] offset:816
	;; [unrolled: 1-line block ×15, first 2 shown]
	s_waitcnt lgkmcnt(0)
	; wave barrier
	s_waitcnt lgkmcnt(0)
	global_load_dwordx4 v[124:127], v[0:1], off offset:2160
	global_load_dwordx4 v[128:131], v[0:1], off offset:2976
	;; [unrolled: 1-line block ×3, first 2 shown]
	v_add_co_u32_e64 v0, s[2:3], s17, v16
	s_nop 1
	v_addc_co_u32_e64 v1, s[2:3], 0, v17, s[2:3]
	global_load_dwordx4 v[136:139], v[0:1], off offset:512
	global_load_dwordx4 v[140:143], v[0:1], off offset:1328
	;; [unrolled: 1-line block ×5, first 2 shown]
	ds_read_b128 v[0:3], v54
	ds_read_b128 v[4:7], v54 offset:816
	ds_read_b128 v[8:11], v54 offset:6528
	;; [unrolled: 1-line block ×15, first 2 shown]
	s_waitcnt vmcnt(7) lgkmcnt(13)
	v_mul_f64 v[52:53], v[10:11], v[126:127]
	v_fma_f64 v[52:53], v[8:9], v[124:125], -v[52:53]
	v_mul_f64 v[8:9], v[8:9], v[126:127]
	v_fmac_f64_e32 v[8:9], v[10:11], v[124:125]
	s_waitcnt vmcnt(6) lgkmcnt(12)
	v_mul_f64 v[10:11], v[14:15], v[130:131]
	v_fma_f64 v[10:11], v[12:13], v[128:129], -v[10:11]
	v_mul_f64 v[12:13], v[12:13], v[130:131]
	v_fmac_f64_e32 v[12:13], v[14:15], v[128:129]
	;; [unrolled: 5-line block ×6, first 2 shown]
	s_waitcnt vmcnt(1) lgkmcnt(1)
	v_mul_f64 v[46:47], v[162:163], v[150:151]
	v_mul_f64 v[56:57], v[160:161], v[150:151]
	s_waitcnt vmcnt(0) lgkmcnt(0)
	v_mul_f64 v[58:59], v[166:167], v[154:155]
	v_mul_f64 v[222:223], v[164:165], v[154:155]
	v_fma_f64 v[46:47], v[160:161], v[148:149], -v[46:47]
	v_fmac_f64_e32 v[56:57], v[162:163], v[148:149]
	v_fma_f64 v[58:59], v[164:165], v[152:153], -v[58:59]
	v_fmac_f64_e32 v[222:223], v[166:167], v[152:153]
	v_add_f64 v[164:165], v[0:1], -v[52:53]
	v_add_f64 v[166:167], v[2:3], -v[8:9]
	;; [unrolled: 1-line block ×16, first 2 shown]
	v_fma_f64 v[160:161], v[0:1], 2.0, -v[164:165]
	v_fma_f64 v[162:163], v[2:3], 2.0, -v[166:167]
	;; [unrolled: 1-line block ×16, first 2 shown]
	ds_write_b128 v54, v[160:163]
	ds_write_b128 v54, v[164:167] offset:6528
	ds_write_b128 v54, v[168:171] offset:816
	;; [unrolled: 1-line block ×15, first 2 shown]
	s_waitcnt lgkmcnt(0)
	; wave barrier
	s_waitcnt lgkmcnt(0)
	s_and_saveexec_b64 s[10:11], vcc
	s_cbranch_execz .LBB0_13
; %bb.12:
	s_add_u32 s14, s8, 0x3300
	s_addc_u32 s15, s9, 0
	global_load_dwordx4 v[6:9], v242, s[14:15]
	ds_read_b128 v[2:5], v54
	v_mov_b32_e32 v243, 0
	v_lshl_add_u64 v[0:1], s[14:15], 0, v[242:243]
	v_add_co_u32_e64 v14, s[2:3], s16, v0
	s_waitcnt vmcnt(0) lgkmcnt(0)
	v_mul_f64 v[10:11], v[4:5], v[8:9]
	v_mul_f64 v[12:13], v[2:3], v[8:9]
	v_fma_f64 v[10:11], v[2:3], v[6:7], -v[10:11]
	v_fmac_f64_e32 v[12:13], v[4:5], v[6:7]
	global_load_dwordx4 v[6:9], v242, s[14:15] offset:768
	ds_write_b128 v54, v[10:13]
	ds_read_b128 v[2:5], v242 offset:768
	ds_read_b128 v[224:227], v242 offset:12288
	v_addc_co_u32_e64 v15, s[2:3], 0, v1, s[2:3]
	s_waitcnt vmcnt(0) lgkmcnt(1)
	v_mul_f64 v[10:11], v[4:5], v[8:9]
	v_mul_f64 v[12:13], v[2:3], v[8:9]
	v_fma_f64 v[10:11], v[2:3], v[6:7], -v[10:11]
	v_fmac_f64_e32 v[12:13], v[4:5], v[6:7]
	ds_read_b128 v[2:5], v242 offset:1536
	global_load_dwordx4 v[6:9], v242, s[14:15] offset:1536
	ds_write_b128 v242, v[10:13] offset:768
	s_waitcnt vmcnt(0) lgkmcnt(1)
	v_mul_f64 v[10:11], v[4:5], v[8:9]
	v_mul_f64 v[12:13], v[2:3], v[8:9]
	v_fma_f64 v[10:11], v[2:3], v[6:7], -v[10:11]
	v_fmac_f64_e32 v[12:13], v[4:5], v[6:7]
	ds_read_b128 v[2:5], v242 offset:2304
	global_load_dwordx4 v[6:9], v242, s[14:15] offset:2304
	ds_write_b128 v242, v[10:13] offset:1536
	;; [unrolled: 8-line block ×4, first 2 shown]
	s_waitcnt vmcnt(0) lgkmcnt(1)
	v_mul_f64 v[10:11], v[4:5], v[8:9]
	v_mul_f64 v[12:13], v[2:3], v[8:9]
	v_fma_f64 v[10:11], v[2:3], v[6:7], -v[10:11]
	v_fmac_f64_e32 v[12:13], v[4:5], v[6:7]
	global_load_dwordx4 v[6:9], v[14:15], off offset:512
	ds_read_b128 v[2:5], v242 offset:4608
	ds_write_b128 v242, v[10:13] offset:3840
	s_waitcnt vmcnt(0) lgkmcnt(1)
	v_mul_f64 v[10:11], v[4:5], v[8:9]
	v_mul_f64 v[12:13], v[2:3], v[8:9]
	v_fma_f64 v[10:11], v[2:3], v[6:7], -v[10:11]
	v_fmac_f64_e32 v[12:13], v[4:5], v[6:7]
	global_load_dwordx4 v[6:9], v[14:15], off offset:1280
	ds_read_b128 v[2:5], v242 offset:5376
	ds_write_b128 v242, v[10:13] offset:4608
	s_waitcnt vmcnt(0) lgkmcnt(1)
	v_mul_f64 v[10:11], v[4:5], v[8:9]
	v_mul_f64 v[12:13], v[2:3], v[8:9]
	v_fma_f64 v[10:11], v[2:3], v[6:7], -v[10:11]
	v_fmac_f64_e32 v[12:13], v[4:5], v[6:7]
	v_or_b32_e32 v6, 0x1800, v242
	global_load_dwordx4 v[6:9], v6, s[14:15]
	ds_read_b128 v[2:5], v242 offset:6144
	ds_write_b128 v242, v[10:13] offset:5376
	s_waitcnt vmcnt(0) lgkmcnt(1)
	v_mul_f64 v[10:11], v[4:5], v[8:9]
	v_mul_f64 v[12:13], v[2:3], v[8:9]
	v_fma_f64 v[10:11], v[2:3], v[6:7], -v[10:11]
	v_fmac_f64_e32 v[12:13], v[4:5], v[6:7]
	global_load_dwordx4 v[6:9], v[14:15], off offset:2816
	ds_read_b128 v[2:5], v242 offset:6912
	ds_write_b128 v242, v[10:13] offset:6144
	s_waitcnt vmcnt(0) lgkmcnt(1)
	v_mul_f64 v[10:11], v[4:5], v[8:9]
	v_mul_f64 v[12:13], v[2:3], v[8:9]
	v_fma_f64 v[10:11], v[2:3], v[6:7], -v[10:11]
	v_fmac_f64_e32 v[12:13], v[4:5], v[6:7]
	global_load_dwordx4 v[6:9], v[14:15], off offset:3584
	ds_read_b128 v[2:5], v242 offset:7680
	ds_write_b128 v242, v[10:13] offset:6912
	s_waitcnt vmcnt(0) lgkmcnt(1)
	v_mul_f64 v[10:11], v[4:5], v[8:9]
	v_mul_f64 v[12:13], v[2:3], v[8:9]
	v_fma_f64 v[10:11], v[2:3], v[6:7], -v[10:11]
	v_fmac_f64_e32 v[12:13], v[4:5], v[6:7]
	ds_write_b128 v242, v[10:13] offset:7680
	v_add_co_u32_e64 v12, s[2:3], s17, v0
	ds_read_b128 v[2:5], v242 offset:8448
	s_nop 0
	v_addc_co_u32_e64 v13, s[2:3], 0, v1, s[2:3]
	global_load_dwordx4 v[6:9], v[12:13], off offset:256
	s_waitcnt vmcnt(0) lgkmcnt(0)
	v_mul_f64 v[0:1], v[4:5], v[8:9]
	v_fma_f64 v[0:1], v[2:3], v[6:7], -v[0:1]
	v_mul_f64 v[2:3], v[2:3], v[8:9]
	v_fmac_f64_e32 v[2:3], v[4:5], v[6:7]
	v_or_b32_e32 v4, 0x2400, v242
	global_load_dwordx4 v[4:7], v4, s[14:15]
	ds_write_b128 v242, v[0:3] offset:8448
	ds_read_b128 v[0:3], v242 offset:9216
	s_waitcnt vmcnt(0) lgkmcnt(0)
	v_mul_f64 v[8:9], v[2:3], v[6:7]
	v_mul_f64 v[10:11], v[0:1], v[6:7]
	v_fma_f64 v[8:9], v[0:1], v[4:5], -v[8:9]
	v_fmac_f64_e32 v[10:11], v[2:3], v[4:5]
	global_load_dwordx4 v[4:7], v[12:13], off offset:1792
	ds_read_b128 v[0:3], v242 offset:9984
	ds_write_b128 v242, v[8:11] offset:9216
	s_waitcnt vmcnt(0) lgkmcnt(1)
	v_mul_f64 v[8:9], v[2:3], v[6:7]
	v_mul_f64 v[10:11], v[0:1], v[6:7]
	v_fma_f64 v[8:9], v[0:1], v[4:5], -v[8:9]
	v_fmac_f64_e32 v[10:11], v[2:3], v[4:5]
	global_load_dwordx4 v[4:7], v[12:13], off offset:2560
	ds_read_b128 v[0:3], v242 offset:10752
	ds_write_b128 v242, v[8:11] offset:9984
	;; [unrolled: 8-line block ×3, first 2 shown]
	s_waitcnt vmcnt(0) lgkmcnt(1)
	v_mul_f64 v[8:9], v[2:3], v[6:7]
	v_fma_f64 v[8:9], v[0:1], v[4:5], -v[8:9]
	v_mul_f64 v[10:11], v[0:1], v[6:7]
	v_or_b32_e32 v0, 0x3000, v242
	global_load_dwordx4 v[16:19], v0, s[14:15]
	v_fmac_f64_e32 v[10:11], v[2:3], v[4:5]
	ds_write_b128 v242, v[8:11] offset:11520
	s_waitcnt vmcnt(0)
	v_mul_f64 v[0:1], v[226:227], v[18:19]
	v_mul_f64 v[2:3], v[224:225], v[18:19]
	v_fma_f64 v[0:1], v[224:225], v[16:17], -v[0:1]
	v_fmac_f64_e32 v[2:3], v[226:227], v[16:17]
	ds_write_b128 v242, v[0:3] offset:12288
.LBB0_13:
	s_or_b64 exec, exec, s[10:11]
	s_waitcnt lgkmcnt(0)
	; wave barrier
	s_waitcnt lgkmcnt(0)
	s_and_saveexec_b64 s[2:3], vcc
	s_cbranch_execz .LBB0_15
; %bb.14:
	ds_read_b128 v[160:163], v54
	ds_read_b128 v[164:167], v54 offset:768
	ds_read_b128 v[168:171], v54 offset:1536
	;; [unrolled: 1-line block ×16, first 2 shown]
.LBB0_15:
	s_or_b64 exec, exec, s[2:3]
	s_mov_b32 s42, 0x5d8e7cdc
	s_waitcnt lgkmcnt(0)
	v_add_f64 v[252:253], v[166:167], -v[158:159]
	s_mov_b32 s10, 0x370991
	s_mov_b32 s43, 0xbfd71e95
	;; [unrolled: 1-line block ×3, first 2 shown]
	v_add_f64 v[20:21], v[164:165], v[156:157]
	v_add_f64 v[244:245], v[166:167], v[158:159]
	s_mov_b32 s11, 0x3fedd6d0
	v_mul_f64 v[58:59], v[252:253], s[42:43]
	v_add_f64 v[6:7], v[170:171], -v[222:223]
	s_mov_b32 s14, 0x75d4884
	s_mov_b32 s21, 0xbfe58eea
	v_add_f64 v[8:9], v[164:165], -v[156:157]
	v_mul_f64 v[60:61], v[244:245], s[10:11]
	v_fma_f64 v[0:1], v[20:21], s[10:11], -v[58:59]
	v_add_f64 v[22:23], v[168:169], v[220:221]
	v_add_f64 v[240:241], v[170:171], v[222:223]
	s_mov_b32 s15, 0x3fe7a5f6
	v_mul_f64 v[62:63], v[6:7], s[20:21]
	s_mov_b32 s24, 0x7c9e640b
	v_add_f64 v[0:1], v[160:161], v[0:1]
	v_fma_f64 v[2:3], s[42:43], v[8:9], v[60:61]
	v_add_f64 v[254:255], v[168:169], -v[220:221]
	v_mul_f64 v[64:65], v[240:241], s[14:15]
	v_fma_f64 v[4:5], v[22:23], s[14:15], -v[62:63]
	v_add_f64 v[24:25], v[174:175], -v[218:219]
	s_mov_b32 s16, 0x2b2883cd
	s_mov_b32 s25, 0xbfeca52d
	v_add_f64 v[2:3], v[162:163], v[2:3]
	v_add_f64 v[0:1], v[4:5], v[0:1]
	v_fma_f64 v[4:5], s[20:21], v[254:255], v[64:65]
	v_add_f64 v[246:247], v[172:173], v[216:217]
	v_add_f64 v[250:251], v[174:175], v[218:219]
	s_mov_b32 s17, 0x3fdc86fa
	v_mul_f64 v[66:67], v[24:25], s[24:25]
	v_add_f64 v[2:3], v[4:5], v[2:3]
	v_add_f64 v[4:5], v[172:173], -v[216:217]
	v_mul_f64 v[68:69], v[250:251], s[16:17]
	v_fma_f64 v[10:11], v[246:247], s[16:17], -v[66:67]
	s_mov_b32 s26, 0xeb564b22
	v_add_f64 v[0:1], v[10:11], v[0:1]
	v_fma_f64 v[10:11], s[24:25], v[4:5], v[68:69]
	v_add_f64 v[34:35], v[178:179], -v[214:215]
	s_mov_b32 s27, 0xbfefdd0d
	v_add_f64 v[12:13], v[10:11], v[2:3]
	v_add_f64 v[248:249], v[176:177], v[212:213]
	;; [unrolled: 1-line block ×3, first 2 shown]
	v_mul_f64 v[70:71], v[34:35], s[26:27]
	v_add_f64 v[10:11], v[176:177], -v[212:213]
	v_mul_f64 v[72:73], v[2:3], s[18:19]
	v_fma_f64 v[14:15], v[248:249], s[18:19], -v[70:71]
	s_mov_b32 s30, 0x923c349f
	v_add_f64 v[16:17], v[14:15], v[0:1]
	v_fma_f64 v[0:1], s[26:27], v[10:11], v[72:73]
	v_add_f64 v[42:43], v[182:183], -v[210:211]
	s_mov_b32 s31, 0xbfeec746
	v_add_f64 v[12:13], v[0:1], v[12:13]
	v_add_f64 v[0:1], v[180:181], v[208:209]
	;; [unrolled: 1-line block ×3, first 2 shown]
	v_mul_f64 v[74:75], v[42:43], s[30:31]
	v_add_f64 v[26:27], v[180:181], -v[208:209]
	v_mul_f64 v[76:77], v[14:15], s[22:23]
	v_fma_f64 v[18:19], v[0:1], s[22:23], -v[74:75]
	s_mov_b32 s36, 0x6c9a05f6
	v_add_f64 v[16:17], v[18:19], v[16:17]
	v_fma_f64 v[18:19], s[30:31], v[26:27], v[76:77]
	v_add_f64 v[46:47], v[186:187], -v[206:207]
	s_mov_b32 s28, 0x6ed5f1bb
	s_mov_b32 s37, 0xbfe9895b
	v_add_f64 v[18:19], v[18:19], v[12:13]
	v_add_f64 v[12:13], v[184:185], v[204:205]
	v_add_f64 v[32:33], v[186:187], v[206:207]
	s_mov_b32 s29, 0xbfe348c8
	v_mul_f64 v[78:79], v[46:47], s[36:37]
	v_add_f64 v[30:31], v[184:185], -v[204:205]
	v_mul_f64 v[92:93], v[32:33], s[28:29]
	v_fma_f64 v[28:29], v[12:13], s[28:29], -v[78:79]
	s_mov_b32 s40, 0x4363dd80
	v_add_f64 v[16:17], v[28:29], v[16:17]
	v_fma_f64 v[28:29], s[36:37], v[30:31], v[92:93]
	v_add_f64 v[50:51], v[190:191], -v[202:203]
	s_mov_b32 s34, 0x910ea3b9
	s_mov_b32 s41, 0xbfe0d888
	v_add_f64 v[18:19], v[28:29], v[18:19]
	v_add_f64 v[28:29], v[188:189], v[200:201]
	v_add_f64 v[40:41], v[190:191], v[202:203]
	s_mov_b32 s35, 0xbfeb34fa
	;; [unrolled: 14-line block ×3, first 2 shown]
	v_mul_f64 v[98:99], v[52:53], s[44:45]
	v_add_f64 v[44:45], v[192:193], -v[196:197]
	v_mul_f64 v[102:103], v[48:49], s[38:39]
	v_fma_f64 v[56:57], v[38:39], s[38:39], -v[98:99]
	v_add_f64 v[224:225], v[56:57], v[16:17]
	v_fma_f64 v[16:17], s[44:45], v[44:45], v[102:103]
	v_add_f64 v[226:227], v[16:17], v[18:19]
	s_waitcnt lgkmcnt(0)
	; wave barrier
	s_and_saveexec_b64 s[2:3], vcc
	s_cbranch_execz .LBB0_17
; %bb.16:
	v_accvgpr_write_b32 a137, v69
	s_mov_b32 s49, 0x3fd71e95
	s_mov_b32 s48, s42
	v_accvgpr_write_b32 a135, v65
	v_accvgpr_write_b32 a136, v68
	v_mul_f64 v[68:69], v[8:9], s[44:45]
	v_accvgpr_write_b32 a127, v71
	v_accvgpr_write_b32 a133, v61
	;; [unrolled: 1-line block ×3, first 2 shown]
	v_mul_f64 v[64:65], v[254:255], s[48:49]
	v_accvgpr_write_b32 a125, v67
	v_accvgpr_write_b32 a126, v70
	v_fma_f64 v[70:71], s[38:39], v[244:245], v[68:69]
	v_accvgpr_write_b32 a155, v97
	s_mov_b32 s51, 0x3fe58eea
	s_mov_b32 s50, s20
	v_accvgpr_write_b32 a8, v236
	v_accvgpr_write_b32 a132, v60
	v_mul_f64 v[60:61], v[4:5], s[40:41]
	v_accvgpr_write_b32 a123, v63
	v_accvgpr_write_b32 a124, v66
	v_fma_f64 v[66:67], s[10:11], v[240:241], v[64:65]
	v_add_f64 v[70:71], v[162:163], v[70:71]
	v_accvgpr_write_b32 a153, v93
	v_accvgpr_write_b32 a154, v96
	v_mul_f64 v[96:97], v[252:253], s[44:45]
	v_accvgpr_write_b32 a145, v99
	v_accvgpr_write_b32 a4, v232
	;; [unrolled: 1-line block ×5, first 2 shown]
	v_mul_f64 v[236:237], v[10:11], s[50:51]
	v_accvgpr_write_b32 a122, v62
	v_fma_f64 v[62:63], s[34:35], v[250:251], v[60:61]
	v_add_f64 v[66:67], v[66:67], v[70:71]
	v_accvgpr_write_b32 a151, v77
	v_accvgpr_write_b32 a152, v92
	v_mul_f64 v[92:93], v[6:7], s[48:49]
	v_accvgpr_write_b32 a143, v95
	v_accvgpr_write_b32 a144, v98
	v_fma_f64 v[98:99], v[20:21], s[38:39], -v[96:97]
	s_mov_b32 s47, 0x3feca52d
	s_mov_b32 s46, s24
	v_accvgpr_write_b32 a5, v233
	v_accvgpr_write_b32 a6, v234
	;; [unrolled: 1-line block ×3, first 2 shown]
	v_mul_f64 v[232:233], v[26:27], s[36:37]
	v_fma_f64 v[238:239], s[14:15], v[2:3], v[236:237]
	v_add_f64 v[62:63], v[62:63], v[66:67]
	v_accvgpr_write_b32 a149, v73
	v_accvgpr_write_b32 a150, v76
	v_mul_f64 v[76:77], v[24:25], s[40:41]
	v_accvgpr_write_b32 a141, v79
	v_accvgpr_write_b32 a142, v94
	v_fma_f64 v[94:95], v[22:23], s[10:11], -v[92:93]
	v_add_f64 v[98:99], v[160:161], v[98:99]
	v_accvgpr_write_b32 a93, v228
	v_accvgpr_write_b32 a94, v229
	v_mul_f64 v[228:229], v[30:31], s[46:47]
	v_fma_f64 v[234:235], s[28:29], v[14:15], v[232:233]
	v_add_f64 v[62:63], v[238:239], v[62:63]
	v_accvgpr_write_b32 a148, v72
	v_mul_f64 v[72:73], v[34:35], s[50:51]
	v_accvgpr_write_b32 a139, v75
	v_accvgpr_write_b32 a140, v78
	v_fma_f64 v[78:79], v[246:247], s[34:35], -v[76:77]
	v_add_f64 v[94:95], v[94:95], v[98:99]
	s_mov_b32 s57, 0x3fefdd0d
	s_mov_b32 s56, s26
	v_mul_f64 v[56:57], v[36:37], s[30:31]
	v_accvgpr_write_b32 a121, v59
	v_accvgpr_write_b32 a2, v230
	v_mov_b32_e32 v243, v231
	v_fma_f64 v[230:231], s[16:17], v[32:33], v[228:229]
	v_add_f64 v[62:63], v[234:235], v[62:63]
	v_mul_f64 v[234:235], v[42:43], s[36:37]
	v_accvgpr_write_b32 a138, v74
	v_fma_f64 v[74:75], v[248:249], s[14:15], -v[72:73]
	v_add_f64 v[78:79], v[78:79], v[94:95]
	v_mul_f64 v[16:17], v[44:45], s[56:57]
	v_accvgpr_write_b32 a120, v58
	v_fma_f64 v[58:59], s[22:23], v[40:41], v[56:57]
	v_add_f64 v[62:63], v[230:231], v[62:63]
	v_mul_f64 v[70:71], v[46:47], s[46:47]
	v_fma_f64 v[238:239], v[0:1], s[28:29], -v[234:235]
	v_add_f64 v[74:75], v[74:75], v[78:79]
	v_fma_f64 v[68:69], v[244:245], s[38:39], -v[68:69]
	v_fma_f64 v[18:19], s[18:19], v[48:49], v[16:17]
	v_add_f64 v[58:59], v[58:59], v[62:63]
	v_accvgpr_write_b32 a147, v103
	v_mul_f64 v[62:63], v[50:51], s[30:31]
	v_fma_f64 v[230:231], v[12:13], s[16:17], -v[70:71]
	v_add_f64 v[74:75], v[238:239], v[74:75]
	v_fma_f64 v[64:65], v[240:241], s[10:11], -v[64:65]
	v_add_f64 v[68:69], v[162:163], v[68:69]
	v_accvgpr_write_b32 a146, v102
	v_add_f64 v[102:103], v[18:19], v[58:59]
	v_mul_f64 v[18:19], v[52:53], s[56:57]
	v_fma_f64 v[66:67], v[28:29], s[22:23], -v[62:63]
	v_add_f64 v[74:75], v[230:231], v[74:75]
	v_fma_f64 v[60:61], v[250:251], s[34:35], -v[60:61]
	v_add_f64 v[64:65], v[64:65], v[68:69]
	;; [unrolled: 2-line block ×4, first 2 shown]
	v_accvgpr_write_b32 a114, v100
	v_add_f64 v[100:101], v[58:59], v[66:67]
	v_fma_f64 v[66:67], v[14:15], s[28:29], -v[232:233]
	v_add_f64 v[60:61], v[74:75], v[60:61]
	v_fma_f64 v[58:59], v[32:33], s[16:17], -v[228:229]
	;; [unrolled: 2-line block ×4, first 2 shown]
	v_add_f64 v[56:57], v[56:57], v[58:59]
	v_fmac_f64_e32 v[96:97], s[38:39], v[20:21]
	v_add_f64 v[58:59], v[16:17], v[56:57]
	v_fmac_f64_e32 v[92:93], s[10:11], v[22:23]
	;; [unrolled: 2-line block ×4, first 2 shown]
	v_add_f64 v[16:17], v[76:77], v[16:17]
	v_mul_f64 v[92:93], v[8:9], s[40:41]
	v_fmac_f64_e32 v[234:235], s[28:29], v[0:1]
	v_add_f64 v[16:17], v[72:73], v[16:17]
	v_mul_f64 v[76:77], v[254:255], s[46:47]
	v_fma_f64 v[94:95], s[34:35], v[244:245], v[92:93]
	v_fmac_f64_e32 v[70:71], s[16:17], v[12:13]
	v_add_f64 v[16:17], v[234:235], v[16:17]
	s_mov_b32 s59, 0x3fe9895b
	s_mov_b32 s58, s36
	v_mul_f64 v[72:73], v[4:5], s[26:27]
	v_fma_f64 v[78:79], s[16:17], v[240:241], v[76:77]
	v_add_f64 v[94:95], v[162:163], v[94:95]
	v_mul_f64 v[236:237], v[252:253], s[40:41]
	v_fmac_f64_e32 v[62:63], s[22:23], v[28:29]
	v_add_f64 v[16:17], v[70:71], v[16:17]
	v_mul_f64 v[68:69], v[10:11], s[58:59]
	v_fma_f64 v[74:75], s[18:19], v[250:251], v[72:73]
	v_add_f64 v[78:79], v[78:79], v[94:95]
	v_mul_f64 v[232:233], v[6:7], s[46:47]
	v_fma_f64 v[238:239], v[20:21], s[34:35], -v[236:237]
	v_fmac_f64_e32 v[18:19], s[18:19], v[38:39]
	v_add_f64 v[16:17], v[62:63], v[16:17]
	v_mul_f64 v[64:65], v[26:27], s[42:43]
	v_fma_f64 v[70:71], s[28:29], v[2:3], v[68:69]
	v_add_f64 v[74:75], v[74:75], v[78:79]
	v_mul_f64 v[228:229], v[24:25], s[26:27]
	v_fma_f64 v[234:235], v[22:23], s[16:17], -v[232:233]
	v_add_f64 v[238:239], v[160:161], v[238:239]
	v_add_f64 v[56:57], v[18:19], v[16:17]
	v_accvgpr_write_b32 a119, v59
	v_mul_f64 v[60:61], v[30:31], s[44:45]
	v_fma_f64 v[66:67], s[10:11], v[14:15], v[64:65]
	v_add_f64 v[70:71], v[70:71], v[74:75]
	v_mul_f64 v[96:97], v[34:35], s[58:59]
	v_fma_f64 v[230:231], v[246:247], s[18:19], -v[228:229]
	v_add_f64 v[234:235], v[234:235], v[238:239]
	v_accvgpr_write_b32 a118, v58
	v_accvgpr_write_b32 a117, v57
	;; [unrolled: 1-line block ×3, first 2 shown]
	v_mul_f64 v[56:57], v[36:37], s[50:51]
	v_fma_f64 v[62:63], s[38:39], v[32:33], v[60:61]
	v_add_f64 v[66:67], v[66:67], v[70:71]
	v_mul_f64 v[78:79], v[42:43], s[42:43]
	v_fma_f64 v[98:99], v[248:249], s[28:29], -v[96:97]
	v_add_f64 v[230:231], v[230:231], v[234:235]
	v_mul_f64 v[16:17], v[44:45], s[30:31]
	v_fma_f64 v[58:59], s[14:15], v[40:41], v[56:57]
	v_add_f64 v[62:63], v[62:63], v[66:67]
	v_mul_f64 v[70:71], v[46:47], s[44:45]
	v_fma_f64 v[94:95], v[0:1], s[10:11], -v[78:79]
	v_add_f64 v[98:99], v[98:99], v[230:231]
	v_accvgpr_write_b32 a113, v103
	v_fma_f64 v[18:19], s[22:23], v[48:49], v[16:17]
	v_add_f64 v[58:59], v[58:59], v[62:63]
	v_mul_f64 v[62:63], v[50:51], s[50:51]
	v_fma_f64 v[74:75], v[12:13], s[38:39], -v[70:71]
	v_add_f64 v[94:95], v[94:95], v[98:99]
	v_accvgpr_write_b32 a112, v102
	v_accvgpr_write_b32 a111, v101
	;; [unrolled: 1-line block ×3, first 2 shown]
	v_add_f64 v[100:101], v[18:19], v[58:59]
	v_mul_f64 v[18:19], v[52:53], s[30:31]
	v_fma_f64 v[66:67], v[28:29], s[14:15], -v[62:63]
	v_add_f64 v[74:75], v[74:75], v[94:95]
	v_fma_f64 v[58:59], v[38:39], s[22:23], -v[18:19]
	v_add_f64 v[66:67], v[66:67], v[74:75]
	v_add_f64 v[98:99], v[58:59], v[66:67]
	v_fma_f64 v[66:67], v[250:251], s[18:19], -v[72:73]
	v_fma_f64 v[72:73], v[244:245], s[34:35], -v[92:93]
	;; [unrolled: 1-line block ×6, first 2 shown]
	v_add_f64 v[72:73], v[162:163], v[72:73]
	v_add_f64 v[68:69], v[68:69], v[72:73]
	v_add_f64 v[66:67], v[66:67], v[68:69]
	v_add_f64 v[64:65], v[64:65], v[66:67]
	v_add_f64 v[60:61], v[60:61], v[64:65]
	v_fma_f64 v[56:57], v[40:41], s[14:15], -v[56:57]
	v_add_f64 v[58:59], v[58:59], v[60:61]
	v_fma_f64 v[16:17], v[48:49], s[22:23], -v[16:17]
	v_add_f64 v[56:57], v[56:57], v[58:59]
	v_fmac_f64_e32 v[236:237], s[34:35], v[20:21]
	v_add_f64 v[58:59], v[16:17], v[56:57]
	v_fmac_f64_e32 v[232:233], s[16:17], v[22:23]
	;; [unrolled: 2-line block ×4, first 2 shown]
	v_add_f64 v[16:17], v[228:229], v[16:17]
	s_mov_b32 s53, 0x3feec746
	s_mov_b32 s52, s30
	v_mul_f64 v[92:93], v[8:9], s[36:37]
	v_fmac_f64_e32 v[78:79], s[10:11], v[0:1]
	v_add_f64 v[16:17], v[96:97], v[16:17]
	v_mul_f64 v[76:77], v[254:255], s[52:53]
	v_fma_f64 v[94:95], s[28:29], v[244:245], v[92:93]
	v_fmac_f64_e32 v[70:71], s[38:39], v[12:13]
	v_add_f64 v[16:17], v[78:79], v[16:17]
	v_mul_f64 v[72:73], v[4:5], s[42:43]
	v_fma_f64 v[78:79], s[22:23], v[240:241], v[76:77]
	v_add_f64 v[94:95], v[162:163], v[94:95]
	v_mul_f64 v[236:237], v[252:253], s[36:37]
	v_fmac_f64_e32 v[62:63], s[14:15], v[28:29]
	v_add_f64 v[16:17], v[70:71], v[16:17]
	v_mul_f64 v[68:69], v[10:11], s[40:41]
	v_fma_f64 v[74:75], s[10:11], v[250:251], v[72:73]
	v_add_f64 v[78:79], v[78:79], v[94:95]
	v_mul_f64 v[232:233], v[6:7], s[52:53]
	v_fma_f64 v[238:239], v[20:21], s[28:29], -v[236:237]
	v_fmac_f64_e32 v[18:19], s[22:23], v[38:39]
	v_add_f64 v[16:17], v[62:63], v[16:17]
	v_mul_f64 v[64:65], v[26:27], s[56:57]
	v_fma_f64 v[70:71], s[34:35], v[2:3], v[68:69]
	v_add_f64 v[74:75], v[74:75], v[78:79]
	v_mul_f64 v[228:229], v[24:25], s[42:43]
	v_fma_f64 v[234:235], v[22:23], s[22:23], -v[232:233]
	v_add_f64 v[238:239], v[160:161], v[238:239]
	v_accvgpr_write_b32 a131, v101
	v_add_f64 v[56:57], v[18:19], v[16:17]
	v_accvgpr_write_b32 a159, v59
	v_mul_f64 v[60:61], v[30:31], s[20:21]
	v_fma_f64 v[66:67], s[18:19], v[14:15], v[64:65]
	v_add_f64 v[70:71], v[70:71], v[74:75]
	v_mul_f64 v[96:97], v[34:35], s[40:41]
	v_fma_f64 v[230:231], v[246:247], s[10:11], -v[228:229]
	v_add_f64 v[234:235], v[234:235], v[238:239]
	v_accvgpr_write_b32 a130, v100
	v_accvgpr_write_b32 a129, v99
	;; [unrolled: 1-line block ×6, first 2 shown]
	v_mul_f64 v[56:57], v[36:37], s[44:45]
	v_fma_f64 v[62:63], s[14:15], v[32:33], v[60:61]
	v_add_f64 v[66:67], v[66:67], v[70:71]
	v_mul_f64 v[78:79], v[42:43], s[56:57]
	v_fma_f64 v[98:99], v[248:249], s[34:35], -v[96:97]
	v_add_f64 v[230:231], v[230:231], v[234:235]
	v_mul_f64 v[16:17], v[44:45], s[46:47]
	v_fma_f64 v[58:59], s[38:39], v[40:41], v[56:57]
	v_add_f64 v[62:63], v[62:63], v[66:67]
	v_mul_f64 v[70:71], v[46:47], s[20:21]
	v_fma_f64 v[94:95], v[0:1], s[18:19], -v[78:79]
	v_add_f64 v[98:99], v[98:99], v[230:231]
	v_fma_f64 v[18:19], s[16:17], v[48:49], v[16:17]
	v_add_f64 v[58:59], v[58:59], v[62:63]
	v_mul_f64 v[62:63], v[50:51], s[44:45]
	v_fma_f64 v[74:75], v[12:13], s[14:15], -v[70:71]
	v_add_f64 v[94:95], v[94:95], v[98:99]
	v_add_f64 v[100:101], v[18:19], v[58:59]
	v_mul_f64 v[18:19], v[52:53], s[46:47]
	v_fma_f64 v[66:67], v[28:29], s[38:39], -v[62:63]
	v_add_f64 v[74:75], v[74:75], v[94:95]
	v_fma_f64 v[58:59], v[38:39], s[16:17], -v[18:19]
	v_add_f64 v[66:67], v[66:67], v[74:75]
	v_add_f64 v[98:99], v[58:59], v[66:67]
	v_fma_f64 v[66:67], v[250:251], s[10:11], -v[72:73]
	v_fma_f64 v[72:73], v[244:245], s[28:29], -v[92:93]
	v_fma_f64 v[58:59], v[32:33], s[14:15], -v[60:61]
	v_fma_f64 v[60:61], v[14:15], s[18:19], -v[64:65]
	v_fma_f64 v[64:65], v[2:3], s[34:35], -v[68:69]
	v_fma_f64 v[68:69], v[240:241], s[22:23], -v[76:77]
	v_add_f64 v[72:73], v[162:163], v[72:73]
	v_add_f64 v[68:69], v[68:69], v[72:73]
	v_add_f64 v[66:67], v[66:67], v[68:69]
	v_add_f64 v[64:65], v[64:65], v[66:67]
	v_add_f64 v[60:61], v[60:61], v[64:65]
	v_fma_f64 v[56:57], v[40:41], s[38:39], -v[56:57]
	v_add_f64 v[58:59], v[58:59], v[60:61]
	v_fma_f64 v[16:17], v[48:49], s[16:17], -v[16:17]
	v_add_f64 v[56:57], v[56:57], v[58:59]
	v_fmac_f64_e32 v[236:237], s[28:29], v[20:21]
	v_add_f64 v[58:59], v[16:17], v[56:57]
	v_fmac_f64_e32 v[232:233], s[22:23], v[22:23]
	;; [unrolled: 2-line block ×4, first 2 shown]
	v_add_f64 v[16:17], v[228:229], v[16:17]
	s_mov_b32 s55, 0x3fe0d888
	s_mov_b32 s54, s40
	v_mul_f64 v[92:93], v[8:9], s[30:31]
	v_fmac_f64_e32 v[78:79], s[18:19], v[0:1]
	v_add_f64 v[16:17], v[96:97], v[16:17]
	v_mul_f64 v[76:77], v[254:255], s[54:55]
	v_fma_f64 v[94:95], s[22:23], v[244:245], v[92:93]
	v_fmac_f64_e32 v[70:71], s[14:15], v[12:13]
	v_add_f64 v[16:17], v[78:79], v[16:17]
	v_mul_f64 v[72:73], v[4:5], s[50:51]
	v_fma_f64 v[78:79], s[34:35], v[240:241], v[76:77]
	v_add_f64 v[94:95], v[162:163], v[94:95]
	v_mul_f64 v[234:235], v[252:253], s[30:31]
	v_fmac_f64_e32 v[62:63], s[38:39], v[28:29]
	v_add_f64 v[16:17], v[70:71], v[16:17]
	v_mul_f64 v[68:69], v[10:11], s[24:25]
	v_fma_f64 v[74:75], s[14:15], v[250:251], v[72:73]
	v_add_f64 v[78:79], v[78:79], v[94:95]
	v_mul_f64 v[230:231], v[6:7], s[54:55]
	v_fma_f64 v[236:237], v[20:21], s[22:23], -v[234:235]
	v_fmac_f64_e32 v[18:19], s[16:17], v[38:39]
	v_add_f64 v[16:17], v[62:63], v[16:17]
	v_mul_f64 v[64:65], v[26:27], s[44:45]
	v_fma_f64 v[70:71], s[16:17], v[2:3], v[68:69]
	v_add_f64 v[74:75], v[74:75], v[78:79]
	v_mul_f64 v[228:229], v[24:25], s[50:51]
	v_fma_f64 v[232:233], v[22:23], s[34:35], -v[230:231]
	v_add_f64 v[236:237], v[160:161], v[236:237]
	v_accvgpr_write_b32 a163, v101
	v_add_f64 v[56:57], v[18:19], v[16:17]
	v_accvgpr_write_b32 a167, v59
	v_mul_f64 v[60:61], v[30:31], s[56:57]
	v_fma_f64 v[66:67], s[38:39], v[14:15], v[64:65]
	v_add_f64 v[70:71], v[70:71], v[74:75]
	v_mul_f64 v[96:97], v[34:35], s[24:25]
	v_add_f64 v[232:233], v[232:233], v[236:237]
	v_fma_f64 v[236:237], v[246:247], s[14:15], -v[228:229]
	v_accvgpr_write_b32 a162, v100
	v_accvgpr_write_b32 a161, v99
	;; [unrolled: 1-line block ×6, first 2 shown]
	v_mul_f64 v[56:57], v[36:37], s[42:43]
	v_fma_f64 v[62:63], s[18:19], v[32:33], v[60:61]
	v_add_f64 v[66:67], v[66:67], v[70:71]
	v_mul_f64 v[78:79], v[42:43], s[44:45]
	v_fma_f64 v[98:99], v[248:249], s[16:17], -v[96:97]
	v_add_f64 v[232:233], v[236:237], v[232:233]
	v_mul_f64 v[16:17], v[44:45], s[36:37]
	v_fma_f64 v[58:59], s[10:11], v[40:41], v[56:57]
	v_add_f64 v[62:63], v[62:63], v[66:67]
	v_mul_f64 v[70:71], v[46:47], s[56:57]
	v_fma_f64 v[94:95], v[0:1], s[38:39], -v[78:79]
	v_add_f64 v[98:99], v[98:99], v[232:233]
	v_fma_f64 v[18:19], s[28:29], v[48:49], v[16:17]
	v_add_f64 v[58:59], v[58:59], v[62:63]
	v_mul_f64 v[62:63], v[50:51], s[42:43]
	v_fma_f64 v[74:75], v[12:13], s[18:19], -v[70:71]
	v_add_f64 v[94:95], v[94:95], v[98:99]
	v_add_f64 v[100:101], v[18:19], v[58:59]
	v_mul_f64 v[58:59], v[52:53], s[36:37]
	v_fma_f64 v[66:67], v[28:29], s[10:11], -v[62:63]
	v_add_f64 v[74:75], v[74:75], v[94:95]
	v_fma_f64 v[18:19], v[38:39], s[28:29], -v[58:59]
	v_add_f64 v[66:67], v[66:67], v[74:75]
	v_add_f64 v[98:99], v[18:19], v[66:67]
	v_fma_f64 v[66:67], v[250:251], s[14:15], -v[72:73]
	v_fma_f64 v[72:73], v[244:245], s[22:23], -v[92:93]
	;; [unrolled: 1-line block ×7, first 2 shown]
	v_add_f64 v[72:73], v[162:163], v[72:73]
	v_add_f64 v[68:69], v[68:69], v[72:73]
	;; [unrolled: 1-line block ×6, first 2 shown]
	v_fma_f64 v[16:17], v[48:49], s[28:29], -v[16:17]
	v_add_f64 v[18:19], v[18:19], v[56:57]
	v_fmac_f64_e32 v[234:235], s[22:23], v[20:21]
	v_add_f64 v[18:19], v[16:17], v[18:19]
	v_fmac_f64_e32 v[230:231], s[34:35], v[22:23]
	;; [unrolled: 2-line block ×4, first 2 shown]
	v_add_f64 v[16:17], v[228:229], v[16:17]
	v_accvgpr_write_b32 a171, v101
	v_add_f64 v[16:17], v[96:97], v[16:17]
	v_mul_f64 v[96:97], v[8:9], s[26:27]
	v_accvgpr_write_b32 a170, v100
	v_accvgpr_write_b32 a169, v99
	v_accvgpr_write_b32 a168, v98
	v_mul_f64 v[92:93], v[254:255], s[44:45]
	v_fma_f64 v[98:99], s[18:19], v[244:245], v[96:97]
	v_fmac_f64_e32 v[78:79], s[38:39], v[0:1]
	v_mul_f64 v[76:77], v[4:5], s[52:53]
	v_fma_f64 v[94:95], s[38:39], v[240:241], v[92:93]
	v_add_f64 v[98:99], v[162:163], v[98:99]
	v_mul_f64 v[232:233], v[252:253], s[26:27]
	v_add_f64 v[16:17], v[78:79], v[16:17]
	v_mul_f64 v[72:73], v[10:11], s[48:49]
	v_fma_f64 v[78:79], s[22:23], v[250:251], v[76:77]
	v_add_f64 v[94:95], v[94:95], v[98:99]
	v_mul_f64 v[98:99], v[6:7], s[44:45]
	v_fma_f64 v[234:235], v[20:21], s[18:19], -v[232:233]
	v_fmac_f64_e32 v[70:71], s[18:19], v[12:13]
	v_mul_f64 v[68:69], v[26:27], s[24:25]
	v_fma_f64 v[74:75], s[10:11], v[2:3], v[72:73]
	v_add_f64 v[78:79], v[78:79], v[94:95]
	v_mul_f64 v[94:95], v[24:25], s[52:53]
	v_fma_f64 v[228:229], v[22:23], s[38:39], -v[98:99]
	v_add_f64 v[234:235], v[160:161], v[234:235]
	v_add_f64 v[16:17], v[70:71], v[16:17]
	v_mul_f64 v[64:65], v[30:31], s[40:41]
	v_fma_f64 v[70:71], s[16:17], v[14:15], v[68:69]
	v_add_f64 v[74:75], v[74:75], v[78:79]
	v_mul_f64 v[78:79], v[34:35], s[48:49]
	v_add_f64 v[228:229], v[228:229], v[234:235]
	v_fma_f64 v[234:235], v[246:247], s[22:23], -v[94:95]
	v_fmac_f64_e32 v[62:63], s[10:11], v[28:29]
	v_mul_f64 v[60:61], v[36:37], s[58:59]
	v_fma_f64 v[66:67], s[34:35], v[32:33], v[64:65]
	v_add_f64 v[70:71], v[70:71], v[74:75]
	v_mul_f64 v[74:75], v[42:43], s[24:25]
	v_add_f64 v[228:229], v[234:235], v[228:229]
	v_fma_f64 v[234:235], v[248:249], s[10:11], -v[78:79]
	v_fmac_f64_e32 v[58:59], s[28:29], v[38:39]
	v_add_f64 v[16:17], v[62:63], v[16:17]
	v_mul_f64 v[56:57], v[44:45], s[50:51]
	v_fma_f64 v[62:63], s[28:29], v[40:41], v[60:61]
	v_add_f64 v[66:67], v[66:67], v[70:71]
	v_mul_f64 v[70:71], v[46:47], s[40:41]
	v_add_f64 v[228:229], v[234:235], v[228:229]
	v_fma_f64 v[234:235], v[0:1], s[16:17], -v[74:75]
	v_add_f64 v[16:17], v[58:59], v[16:17]
	v_fma_f64 v[58:59], s[14:15], v[48:49], v[56:57]
	v_add_f64 v[62:63], v[62:63], v[66:67]
	v_mul_f64 v[66:67], v[50:51], s[58:59]
	v_add_f64 v[228:229], v[234:235], v[228:229]
	v_fma_f64 v[234:235], v[12:13], s[34:35], -v[70:71]
	v_add_f64 v[230:231], v[58:59], v[62:63]
	v_mul_f64 v[58:59], v[52:53], s[50:51]
	v_add_f64 v[228:229], v[234:235], v[228:229]
	v_fma_f64 v[234:235], v[28:29], s[28:29], -v[66:67]
	v_fma_f64 v[62:63], v[38:39], s[14:15], -v[58:59]
	v_add_f64 v[228:229], v[234:235], v[228:229]
	v_add_f64 v[228:229], v[62:63], v[228:229]
	v_fma_f64 v[62:63], v[32:33], s[34:35], -v[64:65]
	v_fma_f64 v[64:65], v[14:15], s[16:17], -v[68:69]
	;; [unrolled: 1-line block ×6, first 2 shown]
	v_add_f64 v[92:93], v[162:163], v[92:93]
	v_add_f64 v[76:77], v[76:77], v[92:93]
	;; [unrolled: 1-line block ×5, first 2 shown]
	v_fma_f64 v[60:61], v[40:41], s[28:29], -v[60:61]
	v_add_f64 v[62:63], v[62:63], v[64:65]
	v_fma_f64 v[56:57], v[48:49], s[14:15], -v[56:57]
	v_add_f64 v[60:61], v[60:61], v[62:63]
	v_fmac_f64_e32 v[232:233], s[18:19], v[20:21]
	v_add_f64 v[234:235], v[56:57], v[60:61]
	v_fmac_f64_e32 v[98:99], s[38:39], v[22:23]
	;; [unrolled: 2-line block ×3, first 2 shown]
	v_add_f64 v[56:57], v[98:99], v[56:57]
	v_mul_f64 v[92:93], v[8:9], s[24:25]
	v_fmac_f64_e32 v[78:79], s[10:11], v[248:249]
	v_add_f64 v[56:57], v[94:95], v[56:57]
	s_mov_b32 s57, 0x3fc7851a
	s_mov_b32 s56, s44
	v_mul_f64 v[76:77], v[254:255], s[36:37]
	v_fma_f64 v[94:95], s[16:17], v[244:245], v[92:93]
	v_fmac_f64_e32 v[74:75], s[16:17], v[0:1]
	v_add_f64 v[56:57], v[78:79], v[56:57]
	v_mul_f64 v[72:73], v[4:5], s[56:57]
	v_fma_f64 v[78:79], s[28:29], v[240:241], v[76:77]
	v_add_f64 v[94:95], v[162:163], v[94:95]
	v_mul_f64 v[98:99], v[252:253], s[24:25]
	v_fmac_f64_e32 v[70:71], s[34:35], v[12:13]
	v_add_f64 v[56:57], v[74:75], v[56:57]
	v_mul_f64 v[68:69], v[10:11], s[52:53]
	v_fma_f64 v[74:75], s[38:39], v[250:251], v[72:73]
	v_add_f64 v[78:79], v[78:79], v[94:95]
	v_mul_f64 v[94:95], v[6:7], s[36:37]
	v_fma_f64 v[236:237], v[20:21], s[16:17], -v[98:99]
	v_fmac_f64_e32 v[66:67], s[28:29], v[28:29]
	v_add_f64 v[56:57], v[70:71], v[56:57]
	v_mul_f64 v[64:65], v[26:27], s[50:51]
	v_fma_f64 v[70:71], s[22:23], v[2:3], v[68:69]
	v_add_f64 v[74:75], v[74:75], v[78:79]
	v_mul_f64 v[78:79], v[24:25], s[56:57]
	v_fma_f64 v[96:97], v[22:23], s[28:29], -v[94:95]
	v_add_f64 v[236:237], v[160:161], v[236:237]
	v_fmac_f64_e32 v[58:59], s[14:15], v[38:39]
	v_add_f64 v[56:57], v[66:67], v[56:57]
	v_mul_f64 v[60:61], v[30:31], s[42:43]
	v_fma_f64 v[66:67], s[14:15], v[14:15], v[64:65]
	v_add_f64 v[70:71], v[70:71], v[74:75]
	v_mul_f64 v[74:75], v[34:35], s[52:53]
	v_add_f64 v[96:97], v[96:97], v[236:237]
	v_fma_f64 v[236:237], v[246:247], s[38:39], -v[78:79]
	v_add_f64 v[232:233], v[58:59], v[56:57]
	v_mul_f64 v[56:57], v[36:37], s[26:27]
	v_fma_f64 v[62:63], s[10:11], v[32:33], v[60:61]
	v_add_f64 v[66:67], v[66:67], v[70:71]
	v_mul_f64 v[70:71], v[42:43], s[50:51]
	v_add_f64 v[96:97], v[236:237], v[96:97]
	v_fma_f64 v[236:237], v[248:249], s[22:23], -v[74:75]
	v_fma_f64 v[58:59], s[18:19], v[40:41], v[56:57]
	v_add_f64 v[62:63], v[62:63], v[66:67]
	v_mul_f64 v[66:67], v[46:47], s[42:43]
	v_add_f64 v[96:97], v[236:237], v[96:97]
	v_fma_f64 v[236:237], v[0:1], s[14:15], -v[70:71]
	v_mul_f64 v[100:101], v[44:45], s[40:41]
	v_add_f64 v[58:59], v[58:59], v[62:63]
	v_mul_f64 v[62:63], v[50:51], s[26:27]
	v_add_f64 v[96:97], v[236:237], v[96:97]
	v_fma_f64 v[236:237], v[12:13], s[10:11], -v[66:67]
	v_fma_f64 v[102:103], s[34:35], v[48:49], v[100:101]
	v_add_f64 v[96:97], v[236:237], v[96:97]
	v_fma_f64 v[236:237], v[28:29], s[18:19], -v[62:63]
	v_add_f64 v[238:239], v[102:103], v[58:59]
	v_mul_f64 v[102:103], v[52:53], s[40:41]
	v_add_f64 v[96:97], v[236:237], v[96:97]
	v_fma_f64 v[58:59], v[38:39], s[34:35], -v[102:103]
	v_add_f64 v[236:237], v[58:59], v[96:97]
	v_fma_f64 v[58:59], v[240:241], s[28:29], -v[76:77]
	v_fma_f64 v[76:77], v[244:245], s[16:17], -v[92:93]
	v_add_f64 v[76:77], v[162:163], v[76:77]
	v_add_f64 v[58:59], v[58:59], v[76:77]
	v_fma_f64 v[72:73], v[250:251], s[38:39], -v[72:73]
	v_add_f64 v[58:59], v[72:73], v[58:59]
	v_fma_f64 v[68:69], v[2:3], s[22:23], -v[68:69]
	;; [unrolled: 2-line block ×5, first 2 shown]
	v_fmac_f64_e32 v[98:99], s[16:17], v[20:21]
	v_add_f64 v[56:57], v[56:57], v[58:59]
	v_fmac_f64_e32 v[94:95], s[28:29], v[22:23]
	v_add_f64 v[58:59], v[160:161], v[98:99]
	v_mul_f64 v[96:97], v[8:9], s[20:21]
	v_mul_f64 v[68:69], v[8:9], s[42:43]
	v_add_f64 v[60:61], v[94:95], v[58:59]
	v_fma_f64 v[58:59], v[48:49], s[34:35], -v[100:101]
	v_fmac_f64_e32 v[78:79], s[38:39], v[246:247]
	v_mul_f64 v[92:93], v[254:255], s[26:27]
	v_fma_f64 v[8:9], s[14:15], v[244:245], v[96:97]
	v_add_f64 v[58:59], v[58:59], v[56:57]
	v_add_f64 v[56:57], v[78:79], v[60:61]
	v_mul_f64 v[78:79], v[4:5], s[36:37]
	v_fma_f64 v[94:95], s[18:19], v[240:241], v[92:93]
	v_add_f64 v[8:9], v[162:163], v[8:9]
	v_fmac_f64_e32 v[74:75], s[22:23], v[248:249]
	v_mul_f64 v[76:77], v[10:11], s[44:45]
	v_add_f64 v[8:9], v[94:95], v[8:9]
	v_fma_f64 v[94:95], s[28:29], v[250:251], v[78:79]
	v_fmac_f64_e32 v[70:71], s[14:15], v[0:1]
	v_add_f64 v[56:57], v[74:75], v[56:57]
	v_mul_f64 v[74:75], v[26:27], s[54:55]
	v_add_f64 v[8:9], v[94:95], v[8:9]
	v_fma_f64 v[94:95], s[38:39], v[2:3], v[76:77]
	v_add_f64 v[56:57], v[70:71], v[56:57]
	v_mul_f64 v[70:71], v[30:31], s[52:53]
	v_add_f64 v[8:9], v[94:95], v[8:9]
	v_fma_f64 v[94:95], s[34:35], v[14:15], v[74:75]
	v_fmac_f64_e32 v[66:67], s[10:11], v[12:13]
	v_mul_f64 v[64:65], v[36:37], s[46:47]
	v_add_f64 v[8:9], v[94:95], v[8:9]
	v_fma_f64 v[94:95], s[22:23], v[32:33], v[70:71]
	v_fmac_f64_e32 v[62:63], s[18:19], v[28:29]
	v_add_f64 v[56:57], v[66:67], v[56:57]
	v_mul_f64 v[60:61], v[44:45], s[48:49]
	v_fma_f64 v[66:67], s[16:17], v[40:41], v[64:65]
	v_add_f64 v[8:9], v[94:95], v[8:9]
	v_add_f64 v[56:57], v[62:63], v[56:57]
	v_fma_f64 v[62:63], s[10:11], v[48:49], v[60:61]
	v_add_f64 v[8:9], v[66:67], v[8:9]
	v_mul_f64 v[66:67], v[252:253], s[20:21]
	v_add_f64 v[8:9], v[62:63], v[8:9]
	v_mul_f64 v[62:63], v[6:7], s[26:27]
	v_fma_f64 v[94:95], v[20:21], s[14:15], -v[66:67]
	v_mul_f64 v[24:25], v[24:25], s[36:37]
	v_fma_f64 v[6:7], v[22:23], s[18:19], -v[62:63]
	v_add_f64 v[94:95], v[160:161], v[94:95]
	v_mul_f64 v[34:35], v[34:35], s[44:45]
	v_add_f64 v[6:7], v[6:7], v[94:95]
	v_fma_f64 v[94:95], v[246:247], s[28:29], -v[24:25]
	v_mul_f64 v[42:43], v[42:43], s[54:55]
	v_add_f64 v[6:7], v[94:95], v[6:7]
	v_fma_f64 v[94:95], v[248:249], s[38:39], -v[34:35]
	;; [unrolled: 3-line block ×3, first 2 shown]
	v_fmac_f64_e32 v[66:67], s[14:15], v[20:21]
	v_mul_f64 v[50:51], v[50:51], s[46:47]
	v_add_f64 v[6:7], v[94:95], v[6:7]
	v_fma_f64 v[94:95], v[12:13], s[22:23], -v[46:47]
	v_fma_f64 v[40:41], v[40:41], s[16:17], -v[64:65]
	v_mul_f64 v[64:65], v[0:1], s[22:23]
	v_fmac_f64_e32 v[42:43], s[34:35], v[0:1]
	v_fmac_f64_e32 v[62:63], s[18:19], v[22:23]
	v_add_f64 v[0:1], v[160:161], v[66:67]
	v_mul_f64 v[52:53], v[52:53], s[48:49]
	v_add_f64 v[6:7], v[94:95], v[6:7]
	v_fma_f64 v[94:95], v[28:29], s[16:17], -v[50:51]
	v_fmac_f64_e32 v[24:25], s[28:29], v[246:247]
	v_add_f64 v[0:1], v[62:63], v[0:1]
	v_add_f64 v[6:7], v[94:95], v[6:7]
	v_fma_f64 v[94:95], v[38:39], s[10:11], -v[52:53]
	v_add_f64 v[0:1], v[24:25], v[0:1]
	v_accvgpr_read_b32 v24, a148
	v_add_f64 v[6:7], v[94:95], v[6:7]
	v_mul_f64 v[94:95], v[22:23], s[14:15]
	v_mul_f64 v[10:11], v[10:11], s[26:27]
	v_accvgpr_read_b32 v22, a150
	v_accvgpr_read_b32 v25, a149
	v_mul_f64 v[26:27], v[26:27], s[30:31]
	v_accvgpr_read_b32 v23, a151
	v_add_f64 v[10:11], v[24:25], -v[10:11]
	v_accvgpr_read_b32 v24, a136
	v_mul_f64 v[4:5], v[4:5], s[24:25]
	v_add_f64 v[22:23], v[22:23], -v[26:27]
	v_accvgpr_read_b32 v25, a137
	v_accvgpr_read_b32 v26, a132
	v_fma_f64 v[96:97], v[244:245], s[14:15], -v[96:97]
	v_add_f64 v[4:5], v[24:25], -v[4:5]
	v_accvgpr_read_b32 v24, a134
	v_accvgpr_read_b32 v27, a133
	v_mul_f64 v[98:99], v[254:255], s[20:21]
	v_fma_f64 v[92:93], v[240:241], s[18:19], -v[92:93]
	v_add_f64 v[96:97], v[162:163], v[96:97]
	v_accvgpr_read_b32 v25, a135
	v_add_f64 v[26:27], v[26:27], -v[68:69]
	v_fma_f64 v[78:79], v[250:251], s[28:29], -v[78:79]
	v_add_f64 v[92:93], v[92:93], v[96:97]
	v_add_f64 v[24:25], v[24:25], -v[98:99]
	v_add_f64 v[26:27], v[162:163], v[26:27]
	v_fma_f64 v[14:15], v[14:15], s[34:35], -v[74:75]
	v_mul_f64 v[74:75], v[28:29], s[34:35]
	v_fma_f64 v[2:3], v[2:3], s[38:39], -v[76:77]
	v_add_f64 v[78:79], v[78:79], v[92:93]
	v_fmac_f64_e32 v[50:51], s[16:17], v[28:29]
	v_add_f64 v[24:25], v[24:25], v[26:27]
	v_accvgpr_read_b32 v28, a120
	v_mul_f64 v[72:73], v[20:21], s[10:11]
	v_add_f64 v[2:3], v[2:3], v[78:79]
	v_accvgpr_read_b32 v20, a152
	v_add_f64 v[4:5], v[4:5], v[24:25]
	v_accvgpr_read_b32 v26, a122
	v_accvgpr_read_b32 v29, a121
	v_mul_f64 v[30:31], v[30:31], s[36:37]
	v_add_f64 v[2:3], v[14:15], v[2:3]
	v_accvgpr_read_b32 v14, a154
	v_accvgpr_read_b32 v21, a153
	v_add_f64 v[4:5], v[10:11], v[4:5]
	v_accvgpr_read_b32 v24, a124
	v_accvgpr_read_b32 v27, a123
	v_add_f64 v[28:29], v[72:73], v[28:29]
	v_mul_f64 v[100:101], v[246:247], s[16:17]
	v_mul_f64 v[36:37], v[36:37], s[40:41]
	v_accvgpr_read_b32 v15, a155
	v_add_f64 v[20:21], v[20:21], -v[30:31]
	v_add_f64 v[4:5], v[22:23], v[4:5]
	v_accvgpr_read_b32 v22, a126
	v_accvgpr_read_b32 v25, a125
	v_add_f64 v[26:27], v[94:95], v[26:27]
	v_add_f64 v[28:29], v[160:161], v[28:29]
	v_fma_f64 v[48:49], v[48:49], s[10:11], -v[60:61]
	v_mul_f64 v[60:61], v[248:249], s[18:19]
	v_fma_f64 v[32:33], v[32:33], s[22:23], -v[70:71]
	v_mul_f64 v[70:71], v[12:13], s[28:29]
	v_fmac_f64_e32 v[46:47], s[22:23], v[12:13]
	v_accvgpr_read_b32 v12, a146
	v_add_f64 v[14:15], v[14:15], -v[36:37]
	v_add_f64 v[4:5], v[20:21], v[4:5]
	v_accvgpr_read_b32 v20, a138
	v_accvgpr_read_b32 v23, a127
	v_add_f64 v[24:25], v[100:101], v[24:25]
	v_add_f64 v[26:27], v[26:27], v[28:29]
	v_mul_f64 v[44:45], v[44:45], s[44:45]
	v_accvgpr_read_b32 v13, a147
	v_add_f64 v[4:5], v[14:15], v[4:5]
	v_accvgpr_read_b32 v14, a140
	v_accvgpr_read_b32 v21, a139
	v_add_f64 v[22:23], v[60:61], v[22:23]
	v_add_f64 v[24:25], v[24:25], v[26:27]
	v_add_f64 v[12:13], v[12:13], -v[44:45]
	v_accvgpr_read_b32 v10, a142
	v_accvgpr_read_b32 v15, a141
	v_add_f64 v[20:21], v[64:65], v[20:21]
	v_add_f64 v[22:23], v[22:23], v[24:25]
	;; [unrolled: 1-line block ×3, first 2 shown]
	v_accvgpr_read_b32 v4, a144
	v_accvgpr_read_b32 v11, a143
	v_add_f64 v[14:15], v[70:71], v[14:15]
	v_add_f64 v[20:21], v[20:21], v[22:23]
	v_mul_f64 v[76:77], v[38:39], s[38:39]
	v_accvgpr_read_b32 v5, a145
	v_add_f64 v[10:11], v[74:75], v[10:11]
	v_add_f64 v[14:15], v[14:15], v[20:21]
	;; [unrolled: 1-line block ×34, first 2 shown]
	v_fmac_f64_e32 v[34:35], s[38:39], v[248:249]
	v_add_f64 v[4:5], v[4:5], v[216:217]
	v_add_f64 v[0:1], v[34:35], v[0:1]
	;; [unrolled: 1-line block ×5, first 2 shown]
	v_accvgpr_read_b32 v4, a0
	v_add_f64 v[2:3], v[32:33], v[2:3]
	v_add_f64 v[0:1], v[46:47], v[0:1]
	v_mul_lo_u16_e32 v4, 17, v4
	v_fmac_f64_e32 v[102:103], s[34:35], v[38:39]
	v_add_f64 v[2:3], v[40:41], v[2:3]
	v_fmac_f64_e32 v[52:53], s[10:11], v[38:39]
	v_add_f64 v[0:1], v[50:51], v[0:1]
	v_lshlrev_b32_e32 v4, 4, v4
	v_add_f64 v[56:57], v[102:103], v[56:57]
	v_add_f64 v[2:3], v[48:49], v[2:3]
	;; [unrolled: 1-line block ×3, first 2 shown]
	ds_write_b128 v4, v[20:23]
	ds_write_b128 v4, v[10:13] offset:16
	ds_write_b128 v4, v[0:3] offset:32
	;; [unrolled: 1-line block ×4, first 2 shown]
	v_accvgpr_read_b32 v235, a7
	ds_write_b128 v4, v[16:19] offset:80
	ds_write_b128 v4, a[164:167] offset:96
	;; [unrolled: 1-line block ×10, first 2 shown]
	v_accvgpr_read_b32 v239, a11
	v_accvgpr_read_b32 v100, a114
	;; [unrolled: 1-line block ×7, first 2 shown]
	v_mov_b32_e32 v231, v243
	v_accvgpr_read_b32 v230, a2
	v_accvgpr_read_b32 v238, a10
	;; [unrolled: 1-line block ×4, first 2 shown]
	ds_write_b128 v4, v[6:9] offset:240
	ds_write_b128 v4, v[224:227] offset:256
.LBB0_17:
	s_or_b64 exec, exec, s[2:3]
	s_waitcnt lgkmcnt(0)
	; wave barrier
	s_waitcnt lgkmcnt(0)
	ds_read_b128 v[0:3], v54
	ds_read_b128 v[4:7], v54 offset:816
	ds_read_b128 v[8:11], v54 offset:6528
	;; [unrolled: 1-line block ×15, first 2 shown]
	s_waitcnt lgkmcnt(13)
	v_mul_f64 v[52:53], v[238:239], v[10:11]
	v_fmac_f64_e32 v[52:53], v[236:237], v[8:9]
	v_mul_f64 v[8:9], v[238:239], v[8:9]
	v_fma_f64 v[10:11], v[236:237], v[10:11], -v[8:9]
	s_waitcnt lgkmcnt(12)
	v_mul_f64 v[60:61], v[234:235], v[14:15]
	v_mul_f64 v[8:9], v[234:235], v[12:13]
	v_fmac_f64_e32 v[60:61], v[232:233], v[12:13]
	v_fma_f64 v[62:63], v[232:233], v[14:15], -v[8:9]
	v_accvgpr_read_b32 v12, a16
	v_accvgpr_read_b32 v14, a18
	v_accvgpr_read_b32 v15, a19
	v_accvgpr_read_b32 v13, a17
	s_waitcnt lgkmcnt(9)
	v_mul_f64 v[64:65], v[14:15], v[26:27]
	v_mul_f64 v[8:9], v[14:15], v[24:25]
	v_fmac_f64_e32 v[64:65], v[12:13], v[24:25]
	v_fma_f64 v[66:67], v[12:13], v[26:27], -v[8:9]
	v_accvgpr_read_b32 v12, a12
	v_accvgpr_read_b32 v14, a14
	v_accvgpr_read_b32 v15, a15
	v_accvgpr_read_b32 v13, a13
	;; [unrolled: 9-line block ×6, first 2 shown]
	s_waitcnt lgkmcnt(0)
	v_mul_f64 v[8:9], v[14:15], v[160:161]
	v_mul_f64 v[96:97], v[14:15], v[162:163]
	v_fma_f64 v[98:99], v[12:13], v[162:163], -v[8:9]
	v_add_f64 v[8:9], v[0:1], -v[52:53]
	v_add_f64 v[10:11], v[2:3], -v[10:11]
	v_fmac_f64_e32 v[96:97], v[12:13], v[160:161]
	v_fma_f64 v[12:13], v[0:1], 2.0, -v[8:9]
	v_fma_f64 v[14:15], v[2:3], 2.0, -v[10:11]
	v_add_f64 v[24:25], v[4:5], -v[60:61]
	v_add_f64 v[26:27], v[6:7], -v[62:63]
	v_fma_f64 v[4:5], v[4:5], 2.0, -v[24:25]
	v_fma_f64 v[6:7], v[6:7], 2.0, -v[26:27]
	v_add_f64 v[28:29], v[16:17], -v[64:65]
	v_add_f64 v[30:31], v[18:19], -v[66:67]
	s_waitcnt lgkmcnt(0)
	; wave barrier
	ds_write_b128 v231, v[12:15]
	ds_write_b128 v231, v[8:11] offset:272
	v_accvgpr_read_b32 v8, a1
	v_fma_f64 v[16:17], v[16:17], 2.0, -v[28:29]
	v_fma_f64 v[18:19], v[18:19], 2.0, -v[30:31]
	v_add_f64 v[40:41], v[20:21], -v[68:69]
	v_add_f64 v[42:43], v[22:23], -v[70:71]
	ds_write_b128 v8, v[4:7]
	ds_write_b128 v8, v[24:27] offset:272
	v_accvgpr_read_b32 v4, a3
	v_fma_f64 v[20:21], v[20:21], 2.0, -v[40:41]
	v_fma_f64 v[22:23], v[22:23], 2.0, -v[42:43]
	v_add_f64 v[44:45], v[32:33], -v[72:73]
	v_add_f64 v[46:47], v[34:35], -v[74:75]
	;; [unrolled: 7-line block ×5, first 2 shown]
	ds_write_b128 v4, v[36:39]
	ds_write_b128 v4, v[156:159] offset:272
	v_accvgpr_read_b32 v4, a47
	v_fma_f64 v[56:57], v[56:57], 2.0, -v[0:1]
	v_fma_f64 v[58:59], v[58:59], 2.0, -v[2:3]
	ds_write_b128 v4, v[48:51]
	ds_write_b128 v4, v[160:163] offset:272
	v_accvgpr_read_b32 v4, a48
	ds_write_b128 v4, v[56:59]
	ds_write_b128 v4, v[0:3] offset:272
	s_waitcnt lgkmcnt(0)
	; wave barrier
	s_waitcnt lgkmcnt(0)
	ds_read_b128 v[24:27], v54
	ds_read_b128 v[16:19], v54 offset:816
	ds_read_b128 v[176:179], v54 offset:8704
	;; [unrolled: 1-line block ×14, first 2 shown]
	s_and_saveexec_b64 s[2:3], s[0:1]
	s_cbranch_execz .LBB0_19
; %bb.18:
	ds_read_b128 v[0:3], v54 offset:4080
	ds_read_b128 v[224:227], v54 offset:8432
	ds_read_b128 v[80:83], v54 offset:12784
.LBB0_19:
	s_or_b64 exec, exec, s[2:3]
	v_accvgpr_read_b32 v42, a54
	v_accvgpr_read_b32 v44, a56
	;; [unrolled: 1-line block ×5, first 2 shown]
	s_waitcnt lgkmcnt(4)
	v_mul_f64 v[40:41], v[44:45], v[182:183]
	v_mul_f64 v[20:21], v[44:45], v[180:181]
	v_accvgpr_read_b32 v48, a52
	v_accvgpr_read_b32 v49, a53
	v_accvgpr_read_b32 v50, a62
	v_fmac_f64_e32 v[40:41], v[42:43], v[180:181]
	v_fma_f64 v[42:43], v[42:43], v[182:183], -v[20:21]
	v_accvgpr_read_b32 v47, a51
	v_mul_f64 v[44:45], v[48:49], v[178:179]
	v_mul_f64 v[20:21], v[48:49], v[176:177]
	v_accvgpr_read_b32 v52, a64
	v_accvgpr_read_b32 v53, a65
	v_accvgpr_read_b32 v56, a58
	v_fmac_f64_e32 v[44:45], v[46:47], v[176:177]
	v_fma_f64 v[46:47], v[46:47], v[178:179], -v[20:21]
	v_accvgpr_read_b32 v51, a63
	;; [unrolled: 8-line block ×6, first 2 shown]
	s_waitcnt lgkmcnt(2)
	v_mul_f64 v[66:67], v[70:71], v[162:163]
	v_mul_f64 v[20:21], v[70:71], v[160:161]
	v_accvgpr_read_b32 v74, a76
	v_accvgpr_read_b32 v75, a77
	v_fmac_f64_e32 v[66:67], v[68:69], v[160:161]
	v_fma_f64 v[68:69], v[68:69], v[162:163], -v[20:21]
	v_accvgpr_read_b32 v73, a75
	v_mul_f64 v[70:71], v[74:75], v[38:39]
	v_mul_f64 v[20:21], v[74:75], v[36:37]
	v_fmac_f64_e32 v[70:71], v[72:73], v[36:37]
	v_fma_f64 v[72:73], v[72:73], v[38:39], -v[20:21]
	v_accvgpr_read_b32 v36, a88
	v_accvgpr_read_b32 v38, a90
	;; [unrolled: 1-line block ×4, first 2 shown]
	s_waitcnt lgkmcnt(1)
	v_mul_f64 v[74:75], v[38:39], v[34:35]
	v_mul_f64 v[20:21], v[38:39], v[32:33]
	v_fmac_f64_e32 v[74:75], v[36:37], v[32:33]
	v_fma_f64 v[76:77], v[36:37], v[34:35], -v[20:21]
	v_accvgpr_read_b32 v32, a82
	v_accvgpr_read_b32 v34, a84
	;; [unrolled: 1-line block ×4, first 2 shown]
	s_waitcnt lgkmcnt(0)
	v_mul_f64 v[20:21], v[34:35], v[28:29]
	v_add_f64 v[22:23], v[40:41], v[44:45]
	s_mov_b32 s2, 0xe8584caa
	v_mul_f64 v[78:79], v[34:35], v[30:31]
	v_fma_f64 v[92:93], v[32:33], v[30:31], -v[20:21]
	v_add_f64 v[20:21], v[24:25], v[40:41]
	v_fmac_f64_e32 v[24:25], -0.5, v[22:23]
	v_add_f64 v[22:23], v[42:43], -v[46:47]
	s_mov_b32 s3, 0xbfebb67a
	s_mov_b32 s11, 0x3febb67a
	;; [unrolled: 1-line block ×3, first 2 shown]
	v_add_f64 v[30:31], v[42:43], v[46:47]
	v_fmac_f64_e32 v[78:79], v[32:33], v[28:29]
	v_fma_f64 v[28:29], s[2:3], v[22:23], v[24:25]
	v_fmac_f64_e32 v[24:25], s[10:11], v[22:23]
	v_add_f64 v[22:23], v[26:27], v[42:43]
	v_fmac_f64_e32 v[26:27], -0.5, v[30:31]
	v_add_f64 v[32:33], v[40:41], -v[44:45]
	v_add_f64 v[34:35], v[48:49], v[52:53]
	v_fma_f64 v[30:31], s[10:11], v[32:33], v[26:27]
	v_fmac_f64_e32 v[26:27], s[2:3], v[32:33]
	v_add_f64 v[32:33], v[16:17], v[48:49]
	v_fmac_f64_e32 v[16:17], -0.5, v[34:35]
	v_add_f64 v[34:35], v[50:51], -v[56:57]
	v_add_f64 v[38:39], v[50:51], v[56:57]
	;; [unrolled: 6-line block ×3, first 2 shown]
	v_add_f64 v[22:23], v[22:23], v[46:47]
	v_fma_f64 v[38:39], s[10:11], v[40:41], v[18:19]
	v_fmac_f64_e32 v[18:19], s[2:3], v[40:41]
	v_add_f64 v[40:41], v[12:13], v[58:59]
	v_fmac_f64_e32 v[12:13], -0.5, v[42:43]
	v_add_f64 v[42:43], v[60:61], -v[64:65]
	v_add_f64 v[46:47], v[60:61], v[64:65]
	v_add_f64 v[20:21], v[20:21], v[44:45]
	v_fma_f64 v[44:45], s[2:3], v[42:43], v[12:13]
	v_fmac_f64_e32 v[12:13], s[10:11], v[42:43]
	v_add_f64 v[42:43], v[14:15], v[60:61]
	v_fmac_f64_e32 v[14:15], -0.5, v[46:47]
	v_add_f64 v[48:49], v[58:59], -v[62:63]
	v_add_f64 v[50:51], v[66:67], v[70:71]
	;; [unrolled: 7-line block ×3, first 2 shown]
	v_add_f64 v[34:35], v[34:35], v[56:57]
	v_fma_f64 v[56:57], s[2:3], v[50:51], v[8:9]
	v_fmac_f64_e32 v[8:9], s[10:11], v[50:51]
	v_add_f64 v[50:51], v[10:11], v[68:69]
	v_fmac_f64_e32 v[10:11], -0.5, v[52:53]
	v_add_f64 v[52:53], v[66:67], -v[70:71]
	v_fma_f64 v[58:59], s[10:11], v[52:53], v[10:11]
	v_fmac_f64_e32 v[10:11], s[2:3], v[52:53]
	v_add_f64 v[52:53], v[4:5], v[74:75]
	v_add_f64 v[60:61], v[52:53], v[78:79]
	;; [unrolled: 1-line block ×3, first 2 shown]
	v_fmac_f64_e32 v[4:5], -0.5, v[52:53]
	v_add_f64 v[52:53], v[76:77], -v[92:93]
	v_add_f64 v[42:43], v[42:43], v[64:65]
	v_fma_f64 v[64:65], s[2:3], v[52:53], v[4:5]
	v_fmac_f64_e32 v[4:5], s[10:11], v[52:53]
	v_add_f64 v[52:53], v[6:7], v[76:77]
	s_waitcnt lgkmcnt(0)
	; wave barrier
	ds_write_b128 v229, v[20:23]
	ds_write_b128 v229, v[28:31] offset:544
	ds_write_b128 v229, v[24:27] offset:1088
	v_accvgpr_read_b32 v20, a95
	v_add_f64 v[40:41], v[40:41], v[62:63]
	v_add_f64 v[62:63], v[52:53], v[92:93]
	;; [unrolled: 1-line block ×3, first 2 shown]
	ds_write_b128 v20, v[32:35]
	ds_write_b128 v20, v[36:39] offset:544
	ds_write_b128 v20, v[16:19] offset:1088
	v_accvgpr_read_b32 v16, a96
	v_add_f64 v[48:49], v[48:49], v[70:71]
	v_add_f64 v[50:51], v[50:51], v[72:73]
	v_fmac_f64_e32 v[6:7], -0.5, v[52:53]
	v_add_f64 v[52:53], v[74:75], -v[78:79]
	ds_write_b128 v16, v[40:43]
	ds_write_b128 v16, v[44:47] offset:544
	ds_write_b128 v16, v[12:15] offset:1088
	v_accvgpr_read_b32 v12, a97
	v_fma_f64 v[66:67], s[10:11], v[52:53], v[6:7]
	v_fmac_f64_e32 v[6:7], s[2:3], v[52:53]
	ds_write_b128 v12, v[48:51]
	ds_write_b128 v12, v[56:59] offset:544
	ds_write_b128 v12, v[8:11] offset:1088
	ds_write_b128 v100, v[60:63]
	ds_write_b128 v100, v[64:67] offset:544
	ds_write_b128 v100, v[4:7] offset:1088
	s_mov_b64 s[14:15], exec
	s_and_b64 s[0:1], s[14:15], s[0:1]
	v_accvgpr_read_b32 v92, a0
	s_mov_b64 exec, s[0:1]
	s_cbranch_execz .LBB0_21
; %bb.20:
	v_accvgpr_read_b32 v12, a24
	v_accvgpr_read_b32 v14, a26
	;; [unrolled: 1-line block ×5, first 2 shown]
	v_mul_f64 v[4:5], v[14:15], v[224:225]
	v_accvgpr_read_b32 v20, a22
	v_accvgpr_read_b32 v21, a23
	v_fma_f64 v[6:7], v[12:13], v[226:227], -v[4:5]
	v_accvgpr_read_b32 v19, a21
	v_mul_f64 v[4:5], v[20:21], v[80:81]
	v_fma_f64 v[10:11], v[18:19], v[82:83], -v[4:5]
	v_mul_f64 v[14:15], v[14:15], v[226:227]
	v_mul_f64 v[16:17], v[20:21], v[82:83]
	v_add_f64 v[4:5], v[6:7], v[10:11]
	v_fmac_f64_e32 v[14:15], v[12:13], v[224:225]
	v_fmac_f64_e32 v[16:17], v[18:19], v[80:81]
	v_fma_f64 v[4:5], -0.5, v[4:5], v[2:3]
	v_add_f64 v[12:13], v[14:15], -v[16:17]
	v_add_f64 v[2:3], v[2:3], v[6:7]
	v_fma_f64 v[8:9], s[2:3], v[12:13], v[4:5]
	v_fmac_f64_e32 v[4:5], s[10:11], v[12:13]
	v_add_f64 v[12:13], v[2:3], v[10:11]
	v_add_f64 v[2:3], v[14:15], v[16:17]
	v_fma_f64 v[2:3], -0.5, v[2:3], v[0:1]
	v_add_f64 v[10:11], v[6:7], -v[10:11]
	v_add_f64 v[0:1], v[0:1], v[14:15]
	v_fma_f64 v[6:7], s[10:11], v[10:11], v[2:3]
	v_fmac_f64_e32 v[2:3], s[2:3], v[10:11]
	v_add_f64 v[10:11], v[0:1], v[16:17]
	ds_write_b128 v228, v[10:13] offset:11424
	ds_write_b128 v228, v[2:5] offset:11968
	;; [unrolled: 1-line block ×3, first 2 shown]
.LBB0_21:
	s_or_b64 exec, exec, s[14:15]
	s_waitcnt lgkmcnt(0)
	; wave barrier
	s_waitcnt lgkmcnt(0)
	ds_read_b128 v[0:3], v54
	ds_read_b128 v[4:7], v54 offset:816
	ds_read_b128 v[8:11], v54 offset:6528
	;; [unrolled: 1-line block ×15, first 2 shown]
	s_waitcnt lgkmcnt(13)
	v_mul_f64 v[52:53], v[86:87], v[10:11]
	v_fmac_f64_e32 v[52:53], v[84:85], v[8:9]
	v_mul_f64 v[8:9], v[86:87], v[8:9]
	v_fma_f64 v[10:11], v[84:85], v[10:11], -v[8:9]
	s_waitcnt lgkmcnt(12)
	v_mul_f64 v[8:9], v[90:91], v[12:13]
	v_mul_f64 v[68:69], v[90:91], v[14:15]
	v_fma_f64 v[14:15], v[88:89], v[14:15], -v[8:9]
	s_waitcnt lgkmcnt(9)
	v_mul_f64 v[8:9], v[86:87], v[24:25]
	v_mul_f64 v[70:71], v[86:87], v[26:27]
	v_fma_f64 v[26:27], v[84:85], v[26:27], -v[8:9]
	s_waitcnt lgkmcnt(8)
	v_mul_f64 v[8:9], v[90:91], v[28:29]
	v_accvgpr_read_b32 v78, a106
	v_mul_f64 v[72:73], v[90:91], v[30:31]
	v_fma_f64 v[30:31], v[88:89], v[30:31], -v[8:9]
	s_waitcnt lgkmcnt(5)
	v_mul_f64 v[8:9], v[106:107], v[40:41]
	v_accvgpr_read_b32 v80, a108
	v_accvgpr_read_b32 v81, a109
	v_mul_f64 v[74:75], v[106:107], v[42:43]
	v_fma_f64 v[42:43], v[104:105], v[42:43], -v[8:9]
	s_waitcnt lgkmcnt(4)
	v_mul_f64 v[76:77], v[80:81], v[46:47]
	v_mul_f64 v[8:9], v[80:81], v[44:45]
	v_accvgpr_read_b32 v80, a102
	v_accvgpr_read_b32 v79, a107
	;; [unrolled: 1-line block ×4, first 2 shown]
	v_fmac_f64_e32 v[70:71], v[84:85], v[24:25]
	v_fmac_f64_e32 v[76:77], v[78:79], v[44:45]
	v_fma_f64 v[46:47], v[78:79], v[46:47], -v[8:9]
	s_waitcnt lgkmcnt(1)
	v_mul_f64 v[78:79], v[82:83], v[62:63]
	v_mul_f64 v[8:9], v[82:83], v[60:61]
	v_accvgpr_read_b32 v82, a98
	v_accvgpr_read_b32 v81, a103
	;; [unrolled: 1-line block ×4, first 2 shown]
	v_fma_f64 v[62:63], v[80:81], v[62:63], -v[8:9]
	v_accvgpr_read_b32 v83, a99
	s_waitcnt lgkmcnt(0)
	v_mul_f64 v[8:9], v[84:85], v[64:65]
	v_fmac_f64_e32 v[68:69], v[88:89], v[12:13]
	v_fmac_f64_e32 v[72:73], v[88:89], v[28:29]
	;; [unrolled: 1-line block ×4, first 2 shown]
	v_mul_f64 v[80:81], v[84:85], v[66:67]
	v_fma_f64 v[66:67], v[82:83], v[66:67], -v[8:9]
	v_add_f64 v[8:9], v[0:1], -v[52:53]
	v_add_f64 v[10:11], v[2:3], -v[10:11]
	v_fma_f64 v[0:1], v[0:1], 2.0, -v[8:9]
	v_fma_f64 v[2:3], v[2:3], 2.0, -v[10:11]
	v_add_f64 v[12:13], v[4:5], -v[68:69]
	v_add_f64 v[14:15], v[6:7], -v[14:15]
	v_add_f64 v[24:25], v[16:17], -v[70:71]
	v_add_f64 v[26:27], v[18:19], -v[26:27]
	v_add_f64 v[28:29], v[20:21], -v[72:73]
	v_add_f64 v[30:31], v[22:23], -v[30:31]
	v_add_f64 v[40:41], v[32:33], -v[74:75]
	v_add_f64 v[42:43], v[34:35], -v[42:43]
	v_fmac_f64_e32 v[80:81], v[82:83], v[64:65]
	v_fma_f64 v[4:5], v[4:5], 2.0, -v[12:13]
	v_fma_f64 v[6:7], v[6:7], 2.0, -v[14:15]
	;; [unrolled: 1-line block ×8, first 2 shown]
	v_add_f64 v[44:45], v[36:37], -v[76:77]
	v_add_f64 v[46:47], v[38:39], -v[46:47]
	;; [unrolled: 1-line block ×4, first 2 shown]
	s_waitcnt lgkmcnt(0)
	; wave barrier
	ds_write_b128 v54, v[0:3]
	ds_write_b128 v54, v[8:11] offset:1632
	ds_write_b128 v54, v[4:7] offset:816
	;; [unrolled: 1-line block ×7, first 2 shown]
	v_accvgpr_read_b32 v0, a92
	v_fma_f64 v[36:37], v[36:37], 2.0, -v[44:45]
	v_fma_f64 v[38:39], v[38:39], 2.0, -v[46:47]
	;; [unrolled: 1-line block ×4, first 2 shown]
	v_add_f64 v[64:65], v[56:57], -v[80:81]
	v_add_f64 v[66:67], v[58:59], -v[66:67]
	ds_write_b128 v0, v[32:35] offset:6528
	ds_write_b128 v0, v[40:43] offset:8160
	;; [unrolled: 1-line block ×4, first 2 shown]
	v_accvgpr_read_b32 v0, a86
	v_fma_f64 v[56:57], v[56:57], 2.0, -v[64:65]
	v_fma_f64 v[58:59], v[58:59], 2.0, -v[66:67]
	ds_write_b128 v0, v[48:51] offset:9792
	ds_write_b128 v0, v[60:63] offset:11424
	v_accvgpr_read_b32 v0, a49
	ds_write_b128 v0, v[56:59] offset:9792
	ds_write_b128 v0, v[64:67] offset:11424
	s_waitcnt lgkmcnt(0)
	; wave barrier
	s_waitcnt lgkmcnt(0)
	ds_read_b128 v[0:3], v54
	ds_read_b128 v[4:7], v54 offset:816
	ds_read_b128 v[8:11], v54 offset:6528
	;; [unrolled: 1-line block ×15, first 2 shown]
	s_waitcnt lgkmcnt(13)
	v_mul_f64 v[52:53], v[110:111], v[10:11]
	v_fmac_f64_e32 v[52:53], v[108:109], v[8:9]
	v_mul_f64 v[8:9], v[110:111], v[8:9]
	v_fma_f64 v[10:11], v[108:109], v[10:11], -v[8:9]
	s_waitcnt lgkmcnt(12)
	v_mul_f64 v[8:9], v[114:115], v[12:13]
	v_mul_f64 v[68:69], v[114:115], v[14:15]
	v_fma_f64 v[14:15], v[112:113], v[14:15], -v[8:9]
	s_waitcnt lgkmcnt(9)
	v_mul_f64 v[8:9], v[118:119], v[24:25]
	;; [unrolled: 4-line block ×7, first 2 shown]
	v_mul_f64 v[8:9], v[122:123], v[64:65]
	v_fmac_f64_e32 v[68:69], v[112:113], v[12:13]
	v_fmac_f64_e32 v[70:71], v[116:117], v[24:25]
	;; [unrolled: 1-line block ×7, first 2 shown]
	v_fma_f64 v[66:67], v[120:121], v[66:67], -v[8:9]
	v_add_f64 v[8:9], v[0:1], -v[52:53]
	v_add_f64 v[10:11], v[2:3], -v[10:11]
	;; [unrolled: 1-line block ×16, first 2 shown]
	v_fma_f64 v[0:1], v[0:1], 2.0, -v[8:9]
	v_fma_f64 v[2:3], v[2:3], 2.0, -v[10:11]
	v_fma_f64 v[4:5], v[4:5], 2.0, -v[12:13]
	v_fma_f64 v[6:7], v[6:7], 2.0, -v[14:15]
	v_fma_f64 v[16:17], v[16:17], 2.0, -v[24:25]
	v_fma_f64 v[18:19], v[18:19], 2.0, -v[26:27]
	v_fma_f64 v[20:21], v[20:21], 2.0, -v[28:29]
	v_fma_f64 v[22:23], v[22:23], 2.0, -v[30:31]
	v_fma_f64 v[32:33], v[32:33], 2.0, -v[40:41]
	v_fma_f64 v[34:35], v[34:35], 2.0, -v[42:43]
	v_fma_f64 v[36:37], v[36:37], 2.0, -v[44:45]
	v_fma_f64 v[38:39], v[38:39], 2.0, -v[46:47]
	v_fma_f64 v[48:49], v[48:49], 2.0, -v[60:61]
	v_fma_f64 v[50:51], v[50:51], 2.0, -v[62:63]
	v_fma_f64 v[56:57], v[56:57], 2.0, -v[64:65]
	v_fma_f64 v[58:59], v[58:59], 2.0, -v[66:67]
	s_waitcnt lgkmcnt(0)
	; wave barrier
	ds_write_b128 v54, v[0:3]
	ds_write_b128 v54, v[8:11] offset:3264
	ds_write_b128 v54, v[4:7] offset:816
	;; [unrolled: 1-line block ×15, first 2 shown]
	s_waitcnt lgkmcnt(0)
	; wave barrier
	s_waitcnt lgkmcnt(0)
	ds_read_b128 v[0:3], v54
	ds_read_b128 v[4:7], v54 offset:816
	ds_read_b128 v[8:11], v54 offset:6528
	;; [unrolled: 1-line block ×15, first 2 shown]
	s_waitcnt lgkmcnt(13)
	v_mul_f64 v[52:53], v[126:127], v[10:11]
	v_fmac_f64_e32 v[52:53], v[124:125], v[8:9]
	v_mul_f64 v[8:9], v[126:127], v[8:9]
	v_fma_f64 v[10:11], v[124:125], v[10:11], -v[8:9]
	s_waitcnt lgkmcnt(12)
	v_mul_f64 v[8:9], v[130:131], v[12:13]
	v_mul_f64 v[68:69], v[130:131], v[14:15]
	v_fma_f64 v[14:15], v[128:129], v[14:15], -v[8:9]
	s_waitcnt lgkmcnt(9)
	v_mul_f64 v[8:9], v[134:135], v[24:25]
	;; [unrolled: 4-line block ×7, first 2 shown]
	v_mul_f64 v[8:9], v[154:155], v[64:65]
	v_fmac_f64_e32 v[68:69], v[128:129], v[12:13]
	v_fmac_f64_e32 v[70:71], v[132:133], v[24:25]
	;; [unrolled: 1-line block ×7, first 2 shown]
	v_fma_f64 v[66:67], v[152:153], v[66:67], -v[8:9]
	v_add_f64 v[8:9], v[0:1], -v[52:53]
	v_add_f64 v[10:11], v[2:3], -v[10:11]
	v_fma_f64 v[0:1], v[0:1], 2.0, -v[8:9]
	v_fma_f64 v[2:3], v[2:3], 2.0, -v[10:11]
	v_add_f64 v[12:13], v[4:5], -v[68:69]
	v_add_f64 v[14:15], v[6:7], -v[14:15]
	;; [unrolled: 1-line block ×14, first 2 shown]
	v_fma_f64 v[4:5], v[4:5], 2.0, -v[12:13]
	v_fma_f64 v[6:7], v[6:7], 2.0, -v[14:15]
	;; [unrolled: 1-line block ×14, first 2 shown]
	ds_write_b128 v54, v[0:3]
	ds_write_b128 v54, v[8:11] offset:6528
	ds_write_b128 v54, v[4:7] offset:816
	;; [unrolled: 1-line block ×15, first 2 shown]
	s_waitcnt lgkmcnt(0)
	; wave barrier
	s_waitcnt lgkmcnt(0)
	s_and_b64 exec, exec, vcc
	s_cbranch_execz .LBB0_23
; %bb.22:
	global_load_dwordx4 v[0:3], v242, s[8:9]
	v_mad_u64_u32 v[14:15], s[0:1], s6, v230, 0
	v_mad_u64_u32 v[16:17], s[2:3], s4, v92, 0
	v_mov_b32_e32 v22, v15
	ds_read_b128 v[4:7], v54
	ds_read_b128 v[8:11], v242 offset:768
	ds_read_b128 v[18:21], v242 offset:12288
	v_mov_b32_e32 v24, v17
	v_mad_u64_u32 v[22:23], s[2:3], s7, v230, v[22:23]
	v_mov_b32_e32 v12, s12
	v_mov_b32_e32 v13, s13
	v_mad_u64_u32 v[24:25], s[2:3], s5, v92, v[24:25]
	v_mov_b32_e32 v15, v22
	v_mov_b32_e32 v17, v24
	v_lshl_add_u64 v[12:13], v[14:15], 4, v[12:13]
	s_mov_b32 s0, 0x14141414
	v_lshl_add_u64 v[14:15], v[16:17], 4, v[12:13]
	s_mov_b32 s1, 0x3f541414
	v_mov_b32_e32 v28, 0x300
	s_mul_i32 s6, s5, 0x300
	v_or_b32_e32 v23, 0xc0, v92
	v_mov_b32_e32 v243, 0
	v_mov_b32_e32 v29, 0x600
	s_mul_i32 s7, s5, 0x600
	v_or_b32_e32 v27, 0x180, v92
	s_waitcnt vmcnt(0) lgkmcnt(2)
	v_mul_f64 v[16:17], v[6:7], v[2:3]
	v_mul_f64 v[2:3], v[4:5], v[2:3]
	v_fmac_f64_e32 v[16:17], v[4:5], v[0:1]
	v_fma_f64 v[2:3], v[0:1], v[6:7], -v[2:3]
	v_mul_f64 v[0:1], v[16:17], s[0:1]
	v_mul_f64 v[2:3], v[2:3], s[0:1]
	global_store_dwordx4 v[14:15], v[0:3], off
	global_load_dwordx4 v[0:3], v242, s[8:9] offset:768
	v_mad_u64_u32 v[14:15], s[2:3], s4, v28, v[14:15]
	v_add_u32_e32 v15, s6, v15
	s_waitcnt vmcnt(0) lgkmcnt(1)
	v_mul_f64 v[4:5], v[10:11], v[2:3]
	v_mul_f64 v[2:3], v[8:9], v[2:3]
	v_fmac_f64_e32 v[4:5], v[8:9], v[0:1]
	v_fma_f64 v[2:3], v[0:1], v[10:11], -v[2:3]
	v_mul_f64 v[0:1], v[4:5], s[0:1]
	v_mul_f64 v[2:3], v[2:3], s[0:1]
	global_store_dwordx4 v[14:15], v[0:3], off
	global_load_dwordx4 v[0:3], v242, s[8:9] offset:1536
	ds_read_b128 v[4:7], v242 offset:1536
	ds_read_b128 v[8:11], v242 offset:2304
	v_mad_u64_u32 v[14:15], s[2:3], s4, v28, v[14:15]
	v_add_u32_e32 v15, s6, v15
	s_waitcnt vmcnt(0) lgkmcnt(1)
	v_mul_f64 v[16:17], v[6:7], v[2:3]
	v_mul_f64 v[2:3], v[4:5], v[2:3]
	v_fmac_f64_e32 v[16:17], v[4:5], v[0:1]
	v_fma_f64 v[2:3], v[0:1], v[6:7], -v[2:3]
	v_mul_f64 v[0:1], v[16:17], s[0:1]
	v_mul_f64 v[2:3], v[2:3], s[0:1]
	global_store_dwordx4 v[14:15], v[0:3], off
	global_load_dwordx4 v[0:3], v242, s[8:9] offset:2304
	v_mad_u64_u32 v[14:15], s[2:3], s4, v28, v[14:15]
	v_add_u32_e32 v15, s6, v15
	v_mad_u64_u32 v[16:17], s[2:3], s4, v23, 0
	v_mov_b32_e32 v22, v17
	v_mad_u64_u32 v[22:23], s[2:3], s5, v23, v[22:23]
	v_mov_b32_e32 v17, v22
	v_lshl_add_u64 v[16:17], v[16:17], 4, v[12:13]
	s_movk_i32 s2, 0x1000
	s_waitcnt vmcnt(0) lgkmcnt(0)
	v_mul_f64 v[4:5], v[10:11], v[2:3]
	v_mul_f64 v[2:3], v[8:9], v[2:3]
	v_fmac_f64_e32 v[4:5], v[8:9], v[0:1]
	v_fma_f64 v[2:3], v[0:1], v[10:11], -v[2:3]
	v_mul_f64 v[0:1], v[4:5], s[0:1]
	v_mul_f64 v[2:3], v[2:3], s[0:1]
	global_store_dwordx4 v[14:15], v[0:3], off
	global_load_dwordx4 v[0:3], v242, s[8:9] offset:3072
	ds_read_b128 v[4:7], v242 offset:3072
	ds_read_b128 v[8:11], v242 offset:3840
	s_waitcnt vmcnt(0) lgkmcnt(1)
	v_mul_f64 v[22:23], v[6:7], v[2:3]
	v_mul_f64 v[2:3], v[4:5], v[2:3]
	v_fmac_f64_e32 v[22:23], v[4:5], v[0:1]
	v_fma_f64 v[2:3], v[0:1], v[6:7], -v[2:3]
	v_mul_f64 v[0:1], v[22:23], s[0:1]
	v_mul_f64 v[2:3], v[2:3], s[0:1]
	global_store_dwordx4 v[16:17], v[0:3], off
	global_load_dwordx4 v[0:3], v242, s[8:9] offset:3840
	v_lshl_add_u64 v[16:17], s[8:9], 0, v[242:243]
	v_add_co_u32_e32 v22, vcc, s2, v16
	v_mad_u64_u32 v[14:15], s[2:3], s4, v29, v[14:15]
	v_add_u32_e32 v15, s7, v15
	v_addc_co_u32_e32 v23, vcc, 0, v17, vcc
	s_waitcnt vmcnt(0) lgkmcnt(0)
	v_mul_f64 v[4:5], v[10:11], v[2:3]
	v_mul_f64 v[2:3], v[8:9], v[2:3]
	v_fmac_f64_e32 v[4:5], v[8:9], v[0:1]
	v_fma_f64 v[2:3], v[0:1], v[10:11], -v[2:3]
	v_mul_f64 v[0:1], v[4:5], s[0:1]
	v_mul_f64 v[2:3], v[2:3], s[0:1]
	global_store_dwordx4 v[14:15], v[0:3], off
	global_load_dwordx4 v[0:3], v[22:23], off offset:512
	ds_read_b128 v[4:7], v242 offset:4608
	ds_read_b128 v[8:11], v242 offset:5376
	v_mad_u64_u32 v[14:15], s[2:3], s4, v28, v[14:15]
	v_add_u32_e32 v15, s6, v15
	s_waitcnt vmcnt(0) lgkmcnt(1)
	v_mul_f64 v[24:25], v[6:7], v[2:3]
	v_mul_f64 v[2:3], v[4:5], v[2:3]
	v_fmac_f64_e32 v[24:25], v[4:5], v[0:1]
	v_fma_f64 v[2:3], v[0:1], v[6:7], -v[2:3]
	v_mul_f64 v[0:1], v[24:25], s[0:1]
	v_mul_f64 v[2:3], v[2:3], s[0:1]
	global_store_dwordx4 v[14:15], v[0:3], off
	global_load_dwordx4 v[0:3], v[22:23], off offset:1280
	v_mad_u64_u32 v[14:15], s[2:3], s4, v28, v[14:15]
	v_add_u32_e32 v15, s6, v15
	v_lshlrev_b32_e32 v6, 4, v27
	v_mad_u64_u32 v[24:25], s[2:3], s4, v27, 0
	v_mov_b32_e32 v26, v25
	v_mad_u64_u32 v[26:27], s[2:3], s5, v27, v[26:27]
	v_mov_b32_e32 v25, v26
	v_lshl_add_u64 v[24:25], v[24:25], 4, v[12:13]
	s_waitcnt vmcnt(0) lgkmcnt(0)
	v_mul_f64 v[4:5], v[10:11], v[2:3]
	v_mul_f64 v[2:3], v[8:9], v[2:3]
	v_fmac_f64_e32 v[4:5], v[8:9], v[0:1]
	v_fma_f64 v[2:3], v[0:1], v[10:11], -v[2:3]
	v_mul_f64 v[0:1], v[4:5], s[0:1]
	v_mul_f64 v[2:3], v[2:3], s[0:1]
	global_store_dwordx4 v[14:15], v[0:3], off
	global_load_dwordx4 v[0:3], v6, s[8:9]
	ds_read_b128 v[4:7], v242 offset:6144
	ds_read_b128 v[8:11], v242 offset:6912
	v_mad_u64_u32 v[14:15], s[2:3], s4, v29, v[14:15]
	v_add_u32_e32 v15, s7, v15
	s_movk_i32 s2, 0x2000
	v_add_co_u32_e32 v16, vcc, s2, v16
	s_waitcnt vmcnt(0) lgkmcnt(1)
	v_mul_f64 v[26:27], v[6:7], v[2:3]
	v_mul_f64 v[2:3], v[4:5], v[2:3]
	v_fmac_f64_e32 v[26:27], v[4:5], v[0:1]
	v_fma_f64 v[2:3], v[0:1], v[6:7], -v[2:3]
	v_mul_f64 v[0:1], v[26:27], s[0:1]
	v_mul_f64 v[2:3], v[2:3], s[0:1]
	global_store_dwordx4 v[24:25], v[0:3], off
	global_load_dwordx4 v[0:3], v[22:23], off offset:2816
	v_addc_co_u32_e32 v17, vcc, 0, v17, vcc
	v_or_b32_e32 v25, 0x240, v92
	s_waitcnt vmcnt(0) lgkmcnt(0)
	v_mul_f64 v[4:5], v[10:11], v[2:3]
	v_mul_f64 v[2:3], v[8:9], v[2:3]
	v_fmac_f64_e32 v[4:5], v[8:9], v[0:1]
	v_fma_f64 v[2:3], v[0:1], v[10:11], -v[2:3]
	v_mul_f64 v[0:1], v[4:5], s[0:1]
	v_mul_f64 v[2:3], v[2:3], s[0:1]
	global_store_dwordx4 v[14:15], v[0:3], off
	global_load_dwordx4 v[0:3], v[22:23], off offset:3584
	ds_read_b128 v[4:7], v242 offset:7680
	ds_read_b128 v[8:11], v242 offset:8448
	v_mad_u64_u32 v[14:15], s[2:3], s4, v28, v[14:15]
	v_add_u32_e32 v15, s6, v15
	s_waitcnt vmcnt(0) lgkmcnt(1)
	v_mul_f64 v[22:23], v[6:7], v[2:3]
	v_mul_f64 v[2:3], v[4:5], v[2:3]
	v_fmac_f64_e32 v[22:23], v[4:5], v[0:1]
	v_fma_f64 v[2:3], v[0:1], v[6:7], -v[2:3]
	v_mul_f64 v[0:1], v[22:23], s[0:1]
	v_mul_f64 v[2:3], v[2:3], s[0:1]
	global_store_dwordx4 v[14:15], v[0:3], off
	global_load_dwordx4 v[0:3], v[16:17], off offset:256
	v_mad_u64_u32 v[14:15], s[2:3], s4, v28, v[14:15]
	v_add_u32_e32 v15, s6, v15
	v_lshlrev_b32_e32 v6, 4, v25
	v_mad_u64_u32 v[22:23], s[2:3], s4, v25, 0
	v_mov_b32_e32 v24, v23
	v_mad_u64_u32 v[24:25], s[2:3], s5, v25, v[24:25]
	v_mov_b32_e32 v23, v24
	v_lshl_add_u64 v[22:23], v[22:23], 4, v[12:13]
	s_waitcnt vmcnt(0) lgkmcnt(0)
	v_mul_f64 v[4:5], v[10:11], v[2:3]
	v_mul_f64 v[2:3], v[8:9], v[2:3]
	v_fmac_f64_e32 v[4:5], v[8:9], v[0:1]
	v_fma_f64 v[2:3], v[0:1], v[10:11], -v[2:3]
	v_mul_f64 v[0:1], v[4:5], s[0:1]
	v_mul_f64 v[2:3], v[2:3], s[0:1]
	global_store_dwordx4 v[14:15], v[0:3], off
	global_load_dwordx4 v[0:3], v6, s[8:9]
	ds_read_b128 v[4:7], v242 offset:9216
	ds_read_b128 v[8:11], v242 offset:9984
	v_mad_u64_u32 v[14:15], s[2:3], s4, v29, v[14:15]
	v_add_u32_e32 v15, s7, v15
	s_waitcnt vmcnt(0) lgkmcnt(1)
	v_mul_f64 v[24:25], v[6:7], v[2:3]
	v_mul_f64 v[2:3], v[4:5], v[2:3]
	v_fmac_f64_e32 v[24:25], v[4:5], v[0:1]
	v_fma_f64 v[2:3], v[0:1], v[6:7], -v[2:3]
	v_mul_f64 v[0:1], v[24:25], s[0:1]
	v_mul_f64 v[2:3], v[2:3], s[0:1]
	global_store_dwordx4 v[22:23], v[0:3], off
	global_load_dwordx4 v[0:3], v[16:17], off offset:1792
	s_waitcnt vmcnt(0) lgkmcnt(0)
	v_mul_f64 v[4:5], v[10:11], v[2:3]
	v_mul_f64 v[2:3], v[8:9], v[2:3]
	v_fmac_f64_e32 v[4:5], v[8:9], v[0:1]
	v_fma_f64 v[2:3], v[0:1], v[10:11], -v[2:3]
	v_mul_f64 v[0:1], v[4:5], s[0:1]
	v_mul_f64 v[2:3], v[2:3], s[0:1]
	global_store_dwordx4 v[14:15], v[0:3], off
	global_load_dwordx4 v[0:3], v[16:17], off offset:2560
	ds_read_b128 v[4:7], v242 offset:10752
	ds_read_b128 v[8:11], v242 offset:11520
	v_mad_u64_u32 v[14:15], s[2:3], s4, v28, v[14:15]
	v_add_u32_e32 v15, s6, v15
	s_waitcnt vmcnt(0) lgkmcnt(1)
	v_mul_f64 v[22:23], v[6:7], v[2:3]
	v_mul_f64 v[2:3], v[4:5], v[2:3]
	v_fmac_f64_e32 v[22:23], v[4:5], v[0:1]
	v_fma_f64 v[2:3], v[0:1], v[6:7], -v[2:3]
	v_mul_f64 v[0:1], v[22:23], s[0:1]
	v_mul_f64 v[2:3], v[2:3], s[0:1]
	global_store_dwordx4 v[14:15], v[0:3], off
	global_load_dwordx4 v[0:3], v[16:17], off offset:3328
	v_mad_u64_u32 v[4:5], s[2:3], s4, v28, v[14:15]
	v_or_b32_e32 v16, 0x300, v92
	v_add_u32_e32 v5, s6, v5
	v_lshlrev_b32_e32 v17, 4, v16
	s_waitcnt vmcnt(0) lgkmcnt(0)
	v_mul_f64 v[6:7], v[10:11], v[2:3]
	v_mul_f64 v[2:3], v[8:9], v[2:3]
	v_fmac_f64_e32 v[6:7], v[8:9], v[0:1]
	v_fma_f64 v[2:3], v[0:1], v[10:11], -v[2:3]
	v_mul_f64 v[0:1], v[6:7], s[0:1]
	v_mul_f64 v[2:3], v[2:3], s[0:1]
	global_store_dwordx4 v[4:5], v[0:3], off
	global_load_dwordx4 v[0:3], v17, s[8:9]
	v_mad_u64_u32 v[4:5], s[2:3], s4, v16, 0
	v_mov_b32_e32 v6, v5
	v_mad_u64_u32 v[6:7], s[2:3], s5, v16, v[6:7]
	v_mov_b32_e32 v5, v6
	v_lshl_add_u64 v[4:5], v[4:5], 4, v[12:13]
	s_waitcnt vmcnt(0)
	v_mul_f64 v[6:7], v[20:21], v[2:3]
	v_mul_f64 v[2:3], v[18:19], v[2:3]
	v_fmac_f64_e32 v[6:7], v[18:19], v[0:1]
	v_fma_f64 v[2:3], v[0:1], v[20:21], -v[2:3]
	v_mul_f64 v[0:1], v[6:7], s[0:1]
	v_mul_f64 v[2:3], v[2:3], s[0:1]
	global_store_dwordx4 v[4:5], v[0:3], off
.LBB0_23:
	s_endpgm
	.section	.rodata,"a",@progbits
	.p2align	6, 0x0
	.amdhsa_kernel bluestein_single_back_len816_dim1_dp_op_CI_CI
		.amdhsa_group_segment_fixed_size 13056
		.amdhsa_private_segment_fixed_size 0
		.amdhsa_kernarg_size 104
		.amdhsa_user_sgpr_count 2
		.amdhsa_user_sgpr_dispatch_ptr 0
		.amdhsa_user_sgpr_queue_ptr 0
		.amdhsa_user_sgpr_kernarg_segment_ptr 1
		.amdhsa_user_sgpr_dispatch_id 0
		.amdhsa_user_sgpr_kernarg_preload_length 0
		.amdhsa_user_sgpr_kernarg_preload_offset 0
		.amdhsa_user_sgpr_private_segment_size 0
		.amdhsa_uses_dynamic_stack 0
		.amdhsa_enable_private_segment 0
		.amdhsa_system_sgpr_workgroup_id_x 1
		.amdhsa_system_sgpr_workgroup_id_y 0
		.amdhsa_system_sgpr_workgroup_id_z 0
		.amdhsa_system_sgpr_workgroup_info 0
		.amdhsa_system_vgpr_workitem_id 0
		.amdhsa_next_free_vgpr 428
		.amdhsa_next_free_sgpr 60
		.amdhsa_accum_offset 256
		.amdhsa_reserve_vcc 1
		.amdhsa_float_round_mode_32 0
		.amdhsa_float_round_mode_16_64 0
		.amdhsa_float_denorm_mode_32 3
		.amdhsa_float_denorm_mode_16_64 3
		.amdhsa_dx10_clamp 1
		.amdhsa_ieee_mode 1
		.amdhsa_fp16_overflow 0
		.amdhsa_tg_split 0
		.amdhsa_exception_fp_ieee_invalid_op 0
		.amdhsa_exception_fp_denorm_src 0
		.amdhsa_exception_fp_ieee_div_zero 0
		.amdhsa_exception_fp_ieee_overflow 0
		.amdhsa_exception_fp_ieee_underflow 0
		.amdhsa_exception_fp_ieee_inexact 0
		.amdhsa_exception_int_div_zero 0
	.end_amdhsa_kernel
	.text
.Lfunc_end0:
	.size	bluestein_single_back_len816_dim1_dp_op_CI_CI, .Lfunc_end0-bluestein_single_back_len816_dim1_dp_op_CI_CI
                                        ; -- End function
	.section	.AMDGPU.csdata,"",@progbits
; Kernel info:
; codeLenInByte = 29284
; NumSgprs: 66
; NumVgprs: 256
; NumAgprs: 172
; TotalNumVgprs: 428
; ScratchSize: 0
; MemoryBound: 0
; FloatMode: 240
; IeeeMode: 1
; LDSByteSize: 13056 bytes/workgroup (compile time only)
; SGPRBlocks: 8
; VGPRBlocks: 53
; NumSGPRsForWavesPerEU: 66
; NumVGPRsForWavesPerEU: 428
; AccumOffset: 256
; Occupancy: 1
; WaveLimiterHint : 1
; COMPUTE_PGM_RSRC2:SCRATCH_EN: 0
; COMPUTE_PGM_RSRC2:USER_SGPR: 2
; COMPUTE_PGM_RSRC2:TRAP_HANDLER: 0
; COMPUTE_PGM_RSRC2:TGID_X_EN: 1
; COMPUTE_PGM_RSRC2:TGID_Y_EN: 0
; COMPUTE_PGM_RSRC2:TGID_Z_EN: 0
; COMPUTE_PGM_RSRC2:TIDIG_COMP_CNT: 0
; COMPUTE_PGM_RSRC3_GFX90A:ACCUM_OFFSET: 63
; COMPUTE_PGM_RSRC3_GFX90A:TG_SPLIT: 0
	.text
	.p2alignl 6, 3212836864
	.fill 256, 4, 3212836864
	.type	__hip_cuid_31dec359dfdd0cc4,@object ; @__hip_cuid_31dec359dfdd0cc4
	.section	.bss,"aw",@nobits
	.globl	__hip_cuid_31dec359dfdd0cc4
__hip_cuid_31dec359dfdd0cc4:
	.byte	0                               ; 0x0
	.size	__hip_cuid_31dec359dfdd0cc4, 1

	.ident	"AMD clang version 19.0.0git (https://github.com/RadeonOpenCompute/llvm-project roc-6.4.0 25133 c7fe45cf4b819c5991fe208aaa96edf142730f1d)"
	.section	".note.GNU-stack","",@progbits
	.addrsig
	.addrsig_sym __hip_cuid_31dec359dfdd0cc4
	.amdgpu_metadata
---
amdhsa.kernels:
  - .agpr_count:     172
    .args:
      - .actual_access:  read_only
        .address_space:  global
        .offset:         0
        .size:           8
        .value_kind:     global_buffer
      - .actual_access:  read_only
        .address_space:  global
        .offset:         8
        .size:           8
        .value_kind:     global_buffer
      - .actual_access:  read_only
        .address_space:  global
        .offset:         16
        .size:           8
        .value_kind:     global_buffer
      - .actual_access:  read_only
        .address_space:  global
        .offset:         24
        .size:           8
        .value_kind:     global_buffer
      - .actual_access:  read_only
        .address_space:  global
        .offset:         32
        .size:           8
        .value_kind:     global_buffer
      - .offset:         40
        .size:           8
        .value_kind:     by_value
      - .address_space:  global
        .offset:         48
        .size:           8
        .value_kind:     global_buffer
      - .address_space:  global
        .offset:         56
        .size:           8
        .value_kind:     global_buffer
      - .address_space:  global
        .offset:         64
        .size:           8
        .value_kind:     global_buffer
      - .address_space:  global
        .offset:         72
        .size:           8
        .value_kind:     global_buffer
      - .offset:         80
        .size:           4
        .value_kind:     by_value
      - .address_space:  global
        .offset:         88
        .size:           8
        .value_kind:     global_buffer
      - .address_space:  global
        .offset:         96
        .size:           8
        .value_kind:     global_buffer
    .group_segment_fixed_size: 13056
    .kernarg_segment_align: 8
    .kernarg_segment_size: 104
    .language:       OpenCL C
    .language_version:
      - 2
      - 0
    .max_flat_workgroup_size: 51
    .name:           bluestein_single_back_len816_dim1_dp_op_CI_CI
    .private_segment_fixed_size: 0
    .sgpr_count:     66
    .sgpr_spill_count: 0
    .symbol:         bluestein_single_back_len816_dim1_dp_op_CI_CI.kd
    .uniform_work_group_size: 1
    .uses_dynamic_stack: false
    .vgpr_count:     428
    .vgpr_spill_count: 0
    .wavefront_size: 64
amdhsa.target:   amdgcn-amd-amdhsa--gfx950
amdhsa.version:
  - 1
  - 2
...

	.end_amdgpu_metadata
